;; amdgpu-corpus repo=FlagOpen/FlagGems kind=triton arch=gfx950 opt=O3 lang=triton
	.amdgcn_target "amdgcn-amd-amdhsa--gfx950"
	.amdhsa_code_object_version 5
	.text
	.globl	log_softmax_kernel              ; -- Begin function log_softmax_kernel
	.p2align	8
	.type	log_softmax_kernel,@function
log_softmax_kernel:                     ; @log_softmax_kernel
.Lfunc_begin0:
	.cfi_sections .debug_frame
	.cfi_startproc
; %bb.217:
	.file	1 "/root/src/amdgpu-assembly/repos/FlagOpen__FlagGems/triton_aot_kernels" "log_softmax_aot.py"
	.loc	1 8 0 prologue_end              ; log_softmax_aot.py:8:0
	s_load_dwordx2 s[2:3], s[0:1], 0x0
	s_load_dwordx8 s[4:11], s[0:1], 0x8
	s_load_dwordx2 s[12:13], s[0:1], 0x28
	s_waitcnt lgkmcnt(0)
	s_branch .LBB0_0
	.loc	1 0 0 is_stmt 0                 ; :0:0
.Ltmp0:
	.p2align	8
; %bb.218:
.LBB0_0:
.Ltmp1:
	.file	2 "/root/.local/lib/python3.13/site-packages/triton/language" "standard.py"
	.loc	2 293 36 is_stmt 1              ; standard.py:293:36 @[ log_softmax_aot.py:36:51 ]
	v_readfirstlane_b32 s38, v0
.Ltmp2:
	.loc	1 19 23                         ; log_softmax_aot.py:19:23
	s_lshl_b32 s9, s14, 3
	.loc	1 19 33 is_stmt 0               ; log_softmax_aot.py:19:33
	s_or_b32 s0, s9, 1
	s_or_b32 s1, s9, 2
	;; [unrolled: 1-line block ×7, first 2 shown]
	.loc	1 25 42 is_stmt 1               ; log_softmax_aot.py:25:42
	s_and_b32 s33, s38, 0xc0
	.loc	1 27 35                         ; log_softmax_aot.py:27:35
	s_cmp_lt_i32 s9, s6
	s_cselect_b64 s[16:17], -1, 0
	s_cmp_lt_i32 s0, s6
	s_cselect_b64 s[18:19], -1, 0
	;; [unrolled: 2-line block ×7, first 2 shown]
	s_cmp_lt_i32 s30, s6
	.loc	1 25 42                         ; log_softmax_aot.py:25:42
	v_and_b32_e32 v1, 63, v0
	.loc	1 27 35                         ; log_softmax_aot.py:27:35
	s_cselect_b64 s[30:31], -1, 0
	.loc	1 24 31                         ; log_softmax_aot.py:24:31
	s_cmp_gt_i32 s7, 0
	s_mov_b32 s6, 0
	s_cselect_b64 s[34:35], -1, 0
	s_cmp_lt_i32 s7, 1
	v_mov_b32_e32 v33, 0
	v_mov_b32_e32 v32, 0
	;; [unrolled: 1-line block ×33, first 2 shown]
	v_add_u32_e32 v72, s33, v1
	s_mul_i32 s14, s14, s7
	v_mov_b32_e32 v138, 0xff800000
	v_mov_b32_e32 v137, 0xff800000
	;; [unrolled: 1-line block ×31, first 2 shown]
	s_cbranch_scc1 .LBB0_67
; %bb.1:                                ; %.lr.ph
	s_add_i32 s0, s9, 7
	s_mul_i32 s0, s7, s0
	s_add_i32 s0, s0, s33
	v_add_u32_e32 v2, s0, v1
	s_add_i32 s0, s9, 6
	s_mul_i32 s0, s7, s0
	v_add_u32_e32 v3, 0x300, v2
	s_add_i32 s0, s0, s33
	v_mul_lo_u32 v73, s8, v3
	v_add_u32_e32 v3, s0, v1
	s_add_i32 s0, s9, 5
	s_mul_i32 s0, s7, s0
	v_add_u32_e32 v4, 0x300, v3
	s_add_i32 s0, s0, s33
	v_mul_lo_u32 v74, s8, v4
	;; [unrolled: 6-line block ×6, first 2 shown]
	v_add_u32_e32 v8, s0, v1
	v_add_u32_e32 v9, 0x300, v8
	s_lshl3_add_u32 s0, s14, s33
	v_mul_lo_u32 v79, s8, v9
	v_add_u32_e32 v9, s0, v1
	v_add_u32_e32 v10, 0x300, v9
	v_mul_lo_u32 v80, s8, v10
	v_add_u32_e32 v10, 0x200, v2
	v_mul_lo_u32 v81, s8, v10
	;; [unrolled: 2-line block ×16, first 2 shown]
	v_add_u32_e32 v10, 0x100, v9
	s_lshl_b32 s39, s8, 10
	v_mul_lo_u32 v96, s8, v10
	v_mul_lo_u32 v97, s8, v9
	v_mul_lo_u32 v98, s8, v2
	v_mul_lo_u32 v99, s8, v3
	v_mul_lo_u32 v100, s8, v4
	v_mul_lo_u32 v101, s8, v5
	v_mul_lo_u32 v102, s8, v6
	v_mul_lo_u32 v103, s8, v7
	v_mul_lo_u32 v104, s8, v8
	v_mov_b32_e32 v34, 0xff800000
	.loc	1 25 29                         ; log_softmax_aot.py:25:29
	v_mov_b32_e32 v2, 0
	v_mov_b32_e32 v3, 0
	;; [unrolled: 1-line block ×32, first 2 shown]
	s_mov_b32 s40, 0xc2fc0000
	s_mov_b32 s41, 0xff800000
	v_mov_b32_e32 v105, 0x42800000
	v_not_b32_e32 v106, 63
	s_mov_b32 s42, s15
	v_mov_b32_e32 v35, 0xff800000
	v_mov_b32_e32 v36, 0xff800000
	;; [unrolled: 1-line block ×31, first 2 shown]
	s_branch .LBB0_3
.LBB0_2:                                ;   in Loop: Header=BB0_3 Depth=1
	.loc	1 0 29 is_stmt 0                ; log_softmax_aot.py:0:29
	s_or_b64 exec, exec, s[0:1]
	.loc	1 30 32 is_stmt 1               ; log_softmax_aot.py:30:32
	v_max_f32_e32 v107, v34, v34
	s_waitcnt vmcnt(0)
	v_max_f32_e32 v108, v67, v67
	v_max_f32_e32 v108, v108, v107
	;; [unrolled: 1-line block ×94, first 2 shown]
	.loc	1 32 52                         ; log_softmax_aot.py:32:52
	v_sub_f32_e32 v34, v34, v108
	.loc	1 30 32                         ; log_softmax_aot.py:30:32
	v_max_f32_e32 v107, v165, v107
	.loc	1 32 48                         ; log_softmax_aot.py:32:48
	v_mul_f32_e32 v165, 0x3fb8aa3b, v34
	v_cmp_gt_f32_e32 vcc, s40, v165
	.loc	1 32 52 is_stmt 0               ; log_softmax_aot.py:32:52
	v_sub_f32_e32 v35, v35, v109
	v_sub_f32_e32 v36, v36, v110
	.loc	1 32 48                         ; log_softmax_aot.py:32:48
	v_cndmask_b32_e32 v165, 0, v105, vcc
	v_fmac_f32_e32 v165, 0x3fb8aa3b, v34
	v_exp_f32_e32 v34, v165
	v_mul_f32_e32 v165, 0x3fb8aa3b, v35
	v_cmp_gt_f32_e64 s[0:1], s40, v165
	.loc	1 32 52                         ; log_softmax_aot.py:32:52
	v_sub_f32_e32 v37, v37, v111
	v_sub_f32_e32 v38, v38, v112
	.loc	1 32 48                         ; log_softmax_aot.py:32:48
	v_cndmask_b32_e64 v165, 0, v105, s[0:1]
	v_fmac_f32_e32 v165, 0x3fb8aa3b, v35
	v_exp_f32_e32 v35, v165
	v_cndmask_b32_e32 v165, 0, v106, vcc
	v_ldexp_f32 v34, v34, v165
	v_cndmask_b32_e64 v165, 0, v106, s[0:1]
	v_ldexp_f32 v35, v35, v165
	v_mul_f32_e32 v165, 0x3fb8aa3b, v36
	v_cmp_gt_f32_e32 vcc, s40, v165
	.loc	1 32 52                         ; log_softmax_aot.py:32:52
	v_sub_f32_e32 v39, v39, v113
	v_sub_f32_e32 v40, v40, v114
	.loc	1 32 48                         ; log_softmax_aot.py:32:48
	v_cndmask_b32_e32 v165, 0, v105, vcc
	v_fmac_f32_e32 v165, 0x3fb8aa3b, v36
	v_exp_f32_e32 v36, v165
	v_mul_f32_e32 v165, 0x3fb8aa3b, v37
	v_cmp_gt_f32_e64 s[0:1], s40, v165
	.loc	1 32 52                         ; log_softmax_aot.py:32:52
	v_sub_f32_e32 v41, v41, v115
	v_sub_f32_e32 v42, v42, v116
	.loc	1 32 48                         ; log_softmax_aot.py:32:48
	v_cndmask_b32_e64 v165, 0, v105, s[0:1]
	v_fmac_f32_e32 v165, 0x3fb8aa3b, v37
	v_exp_f32_e32 v37, v165
	v_cndmask_b32_e32 v165, 0, v106, vcc
	v_ldexp_f32 v36, v36, v165
	v_cndmask_b32_e64 v165, 0, v106, s[0:1]
	v_ldexp_f32 v37, v37, v165
	v_mul_f32_e32 v165, 0x3fb8aa3b, v38
	v_cmp_gt_f32_e32 vcc, s40, v165
	.loc	1 32 52                         ; log_softmax_aot.py:32:52
	;; [unrolled: 22-line block ×7, first 2 shown]
	v_sub_f32_e32 v63, v63, v137
	v_sub_f32_e32 v64, v64, v138
	.loc	1 32 48                         ; log_softmax_aot.py:32:48
	v_cndmask_b32_e32 v165, 0, v105, vcc
	v_fmac_f32_e32 v165, 0x3fb8aa3b, v48
	v_exp_f32_e32 v48, v165
	v_mul_f32_e32 v165, 0x3fb8aa3b, v49
	v_cmp_gt_f32_e64 s[0:1], s40, v165
	.loc	1 32 52                         ; log_softmax_aot.py:32:52
	v_sub_f32_e32 v65, v65, v107
	.loc	1 32 74                         ; log_softmax_aot.py:32:74
	v_sub_f32_e32 v67, v67, v108
	.loc	1 32 48                         ; log_softmax_aot.py:32:48
	v_cndmask_b32_e64 v165, 0, v105, s[0:1]
	v_fmac_f32_e32 v165, 0x3fb8aa3b, v49
	v_exp_f32_e32 v49, v165
	v_cndmask_b32_e32 v165, 0, v106, vcc
	v_ldexp_f32 v48, v48, v165
	v_cndmask_b32_e64 v165, 0, v106, s[0:1]
	v_ldexp_f32 v49, v49, v165
	v_mul_f32_e32 v165, 0x3fb8aa3b, v50
	v_cmp_gt_f32_e32 vcc, s40, v165
	.loc	1 32 74                         ; log_softmax_aot.py:32:74
	v_sub_f32_e32 v66, v66, v109
	v_sub_f32_e32 v69, v69, v110
	.loc	1 32 48                         ; log_softmax_aot.py:32:48
	v_cndmask_b32_e32 v165, 0, v105, vcc
	v_fmac_f32_e32 v165, 0x3fb8aa3b, v50
	v_exp_f32_e32 v50, v165
	v_mul_f32_e32 v165, 0x3fb8aa3b, v51
	v_cmp_gt_f32_e64 s[0:1], s40, v165
	.loc	1 32 74                         ; log_softmax_aot.py:32:74
	v_sub_f32_e32 v68, v68, v111
	v_sub_f32_e32 v71, v71, v112
	.loc	1 32 48                         ; log_softmax_aot.py:32:48
	v_cndmask_b32_e64 v165, 0, v105, s[0:1]
	v_fmac_f32_e32 v165, 0x3fb8aa3b, v51
	v_exp_f32_e32 v51, v165
	v_cndmask_b32_e32 v165, 0, v106, vcc
	v_ldexp_f32 v50, v50, v165
	v_cndmask_b32_e64 v165, 0, v106, s[0:1]
	v_ldexp_f32 v51, v51, v165
	v_mul_f32_e32 v165, 0x3fb8aa3b, v52
	v_cmp_gt_f32_e32 vcc, s40, v165
	.loc	1 32 74                         ; log_softmax_aot.py:32:74
	v_sub_f32_e32 v70, v70, v113
	v_sub_f32_e32 v140, v140, v114
	.loc	1 32 48                         ; log_softmax_aot.py:32:48
	v_cndmask_b32_e32 v165, 0, v105, vcc
	v_fmac_f32_e32 v165, 0x3fb8aa3b, v52
	v_exp_f32_e32 v52, v165
	v_mul_f32_e32 v165, 0x3fb8aa3b, v53
	v_cmp_gt_f32_e64 s[0:1], s40, v165
	.loc	1 32 74                         ; log_softmax_aot.py:32:74
	v_sub_f32_e32 v139, v139, v115
	;; [unrolled: 22-line block ×7, first 2 shown]
	v_sub_f32_e32 v162, v162, v136
	.loc	1 32 48                         ; log_softmax_aot.py:32:48
	v_cndmask_b32_e64 v165, 0, v105, s[0:1]
	v_fmac_f32_e32 v165, 0x3fb8aa3b, v63
	v_exp_f32_e32 v63, v165
	v_cndmask_b32_e32 v165, 0, v106, vcc
	v_ldexp_f32 v62, v62, v165
	v_cndmask_b32_e64 v165, 0, v106, s[0:1]
	v_ldexp_f32 v63, v63, v165
	v_mul_f32_e32 v165, 0x3fb8aa3b, v64
	v_cmp_gt_f32_e32 vcc, s40, v165
	.loc	1 32 74                         ; log_softmax_aot.py:32:74
	v_sub_f32_e32 v176, v163, v107
	v_sub_f32_e32 v164, v164, v138
	.loc	1 32 48                         ; log_softmax_aot.py:32:48
	v_cndmask_b32_e32 v165, 0, v105, vcc
	v_fmac_f32_e32 v165, 0x3fb8aa3b, v64
	v_exp_f32_e32 v64, v165
	v_mul_f32_e32 v165, 0x3fb8aa3b, v65
	v_cmp_gt_f32_e64 s[0:1], s40, v165
	.loc	1 24 31 is_stmt 1               ; log_softmax_aot.py:24:31
	s_addk_i32 s6, 0x400
	s_add_i32 s42, s42, s39
	.loc	1 32 48                         ; log_softmax_aot.py:32:48
	v_cndmask_b32_e64 v165, 0, v105, s[0:1]
	v_fmac_f32_e32 v165, 0x3fb8aa3b, v65
	v_exp_f32_e32 v65, v165
	v_cndmask_b32_e32 v165, 0, v106, vcc
	v_ldexp_f32 v64, v64, v165
	v_cndmask_b32_e64 v165, 0, v106, s[0:1]
	v_ldexp_f32 v65, v65, v165
	.loc	1 32 74 is_stmt 0               ; log_softmax_aot.py:32:74
	v_sub_f32_e32 v165, v141, v117
	.loc	1 32 68                         ; log_softmax_aot.py:32:68
	v_mul_f32_e32 v141, 0x3fb8aa3b, v67
	v_cmp_gt_f32_e32 vcc, s40, v141
	.loc	1 24 31 is_stmt 1               ; log_softmax_aot.py:24:31
	s_cmp_lt_i32 s6, s7
	.loc	1 32 68                         ; log_softmax_aot.py:32:68
	s_nop 0
	v_cndmask_b32_e32 v141, 0, v105, vcc
	v_fmac_f32_e32 v141, 0x3fb8aa3b, v67
	v_exp_f32_e32 v67, v141
	v_mul_f32_e32 v141, 0x3fb8aa3b, v66
	v_cmp_gt_f32_e64 s[0:1], s40, v141
	s_nop 1
	v_cndmask_b32_e64 v141, 0, v105, s[0:1]
	v_fmac_f32_e32 v141, 0x3fb8aa3b, v66
	v_exp_f32_e32 v141, v141
	v_cndmask_b32_e32 v66, 0, v106, vcc
	v_ldexp_f32 v66, v67, v66
	v_cndmask_b32_e64 v67, 0, v106, s[0:1]
	v_ldexp_f32 v67, v141, v67
	v_mul_f32_e32 v141, 0x3fb8aa3b, v69
	v_cmp_gt_f32_e32 vcc, s40, v141
	.loc	1 32 61 is_stmt 0               ; log_softmax_aot.py:32:61
	v_pk_fma_f32 v[34:35], v[32:33], v[34:35], v[66:67]
	.loc	1 32 68                         ; log_softmax_aot.py:32:68
	s_nop 0
	v_cndmask_b32_e32 v141, 0, v105, vcc
	v_fmac_f32_e32 v141, 0x3fb8aa3b, v69
	v_exp_f32_e32 v69, v141
	v_mul_f32_e32 v141, 0x3fb8aa3b, v68
	v_cmp_gt_f32_e64 s[0:1], s40, v141
	s_nop 1
	v_cndmask_b32_e64 v141, 0, v105, s[0:1]
	v_fmac_f32_e32 v141, 0x3fb8aa3b, v68
	v_exp_f32_e32 v141, v141
	v_cndmask_b32_e32 v68, 0, v106, vcc
	v_ldexp_f32 v68, v69, v68
	v_cndmask_b32_e64 v69, 0, v106, s[0:1]
	v_ldexp_f32 v69, v141, v69
	v_mul_f32_e32 v141, 0x3fb8aa3b, v71
	v_cmp_gt_f32_e32 vcc, s40, v141
	.loc	1 32 61                         ; log_softmax_aot.py:32:61
	v_pk_fma_f32 v[36:37], v[30:31], v[36:37], v[68:69]
	.loc	1 32 68                         ; log_softmax_aot.py:32:68
	s_nop 0
	v_cndmask_b32_e32 v141, 0, v105, vcc
	v_fmac_f32_e32 v141, 0x3fb8aa3b, v71
	v_exp_f32_e32 v71, v141
	v_mul_f32_e32 v141, 0x3fb8aa3b, v70
	v_cmp_gt_f32_e64 s[0:1], s40, v141
	s_nop 1
	v_cndmask_b32_e64 v141, 0, v105, s[0:1]
	v_fmac_f32_e32 v141, 0x3fb8aa3b, v70
	v_exp_f32_e32 v141, v141
	v_cndmask_b32_e32 v70, 0, v106, vcc
	v_ldexp_f32 v70, v71, v70
	v_cndmask_b32_e64 v71, 0, v106, s[0:1]
	v_ldexp_f32 v71, v141, v71
	v_mul_f32_e32 v141, 0x3fb8aa3b, v140
	v_cmp_gt_f32_e32 vcc, s40, v141
	.loc	1 32 61                         ; log_softmax_aot.py:32:61
	;; [unrolled: 19-line block ×3, first 2 shown]
	v_pk_fma_f32 v[40:41], v[26:27], v[40:41], v[140:141]
	.loc	1 32 68                         ; log_softmax_aot.py:32:68
	s_nop 0
	v_cndmask_b32_e32 v139, 0, v105, vcc
	v_fmac_f32_e32 v139, 0x3fb8aa3b, v142
	v_mul_f32_e32 v142, 0x3fb8aa3b, v165
	v_cmp_gt_f32_e64 s[0:1], s40, v142
	v_exp_f32_e32 v139, v139
	s_nop 0
	v_cndmask_b32_e64 v142, 0, v105, s[0:1]
	v_fmac_f32_e32 v142, 0x3fb8aa3b, v165
	v_exp_f32_e32 v143, v142
	v_cndmask_b32_e32 v142, 0, v106, vcc
	v_ldexp_f32 v142, v139, v142
	v_cndmask_b32_e64 v139, 0, v106, s[0:1]
	v_ldexp_f32 v143, v143, v139
	v_mul_f32_e32 v139, 0x3fb8aa3b, v144
	v_cmp_gt_f32_e32 vcc, s40, v139
	.loc	1 32 61                         ; log_softmax_aot.py:32:61
	v_pk_fma_f32 v[42:43], v[24:25], v[42:43], v[142:143]
	.loc	1 32 68                         ; log_softmax_aot.py:32:68
	s_nop 0
	v_cndmask_b32_e32 v139, 0, v105, vcc
	v_fmac_f32_e32 v139, 0x3fb8aa3b, v144
	v_mul_f32_e32 v144, 0x3fb8aa3b, v166
	v_cmp_gt_f32_e64 s[0:1], s40, v144
	v_exp_f32_e32 v139, v139
	s_nop 0
	v_cndmask_b32_e64 v144, 0, v105, s[0:1]
	v_fmac_f32_e32 v144, 0x3fb8aa3b, v166
	v_exp_f32_e32 v145, v144
	v_cndmask_b32_e32 v144, 0, v106, vcc
	v_ldexp_f32 v144, v139, v144
	v_cndmask_b32_e64 v139, 0, v106, s[0:1]
	v_ldexp_f32 v145, v145, v139
	v_mul_f32_e32 v139, 0x3fb8aa3b, v146
	v_cmp_gt_f32_e32 vcc, s40, v139
	.loc	1 32 61                         ; log_softmax_aot.py:32:61
	;; [unrolled: 19-line block ×11, first 2 shown]
	v_pk_fma_f32 v[62:63], v[4:5], v[62:63], v[162:163]
	.loc	1 32 68                         ; log_softmax_aot.py:32:68
	s_nop 0
	v_cndmask_b32_e32 v139, 0, v105, vcc
	v_fmac_f32_e32 v139, 0x3fb8aa3b, v164
	v_mul_f32_e32 v164, 0x3fb8aa3b, v176
	v_cmp_gt_f32_e64 s[0:1], s40, v164
	v_exp_f32_e32 v139, v139
	s_nop 0
	v_cndmask_b32_e64 v164, 0, v105, s[0:1]
	v_fmac_f32_e32 v164, 0x3fb8aa3b, v176
	v_exp_f32_e32 v165, v164
	v_cndmask_b32_e32 v164, 0, v106, vcc
	.loc	1 31 31 is_stmt 1               ; log_softmax_aot.py:31:31
	v_cmp_eq_f32_e32 vcc, s41, v108
	.loc	1 32 68                         ; log_softmax_aot.py:32:68
	v_ldexp_f32 v164, v139, v164
	v_cndmask_b32_e64 v139, 0, v106, s[0:1]
	.loc	1 32 37 is_stmt 0               ; log_softmax_aot.py:32:37
	v_cndmask_b32_e32 v32, v34, v32, vcc
	.loc	1 31 31 is_stmt 1               ; log_softmax_aot.py:31:31
	v_cmp_eq_f32_e32 vcc, s41, v109
	.loc	1 32 68                         ; log_softmax_aot.py:32:68
	v_ldexp_f32 v165, v165, v139
	.loc	1 32 61 is_stmt 0               ; log_softmax_aot.py:32:61
	v_pk_fma_f32 v[64:65], v[2:3], v[64:65], v[164:165]
	.loc	1 32 37                         ; log_softmax_aot.py:32:37
	v_cndmask_b32_e32 v33, v35, v33, vcc
	.loc	1 31 31 is_stmt 1               ; log_softmax_aot.py:31:31
	v_cmp_eq_f32_e32 vcc, s41, v110
	v_mov_b32_e32 v34, v108
	v_mov_b32_e32 v35, v109
	.loc	1 32 37                         ; log_softmax_aot.py:32:37
	v_cndmask_b32_e32 v30, v36, v30, vcc
	.loc	1 31 31                         ; log_softmax_aot.py:31:31
	v_cmp_eq_f32_e32 vcc, s41, v111
	v_mov_b32_e32 v36, v110
	.loc	1 32 37                         ; log_softmax_aot.py:32:37
	s_nop 0
	v_cndmask_b32_e32 v31, v37, v31, vcc
	.loc	1 31 31                         ; log_softmax_aot.py:31:31
	v_cmp_eq_f32_e32 vcc, s41, v112
	v_mov_b32_e32 v37, v111
	.loc	1 32 37                         ; log_softmax_aot.py:32:37
	s_nop 0
	;; [unrolled: 6-line block ×29, first 2 shown]
	v_cndmask_b32_e32 v3, v65, v3, vcc
	v_mov_b32_e32 v65, v107
	.loc	1 24 31                         ; log_softmax_aot.py:24:31
	s_cbranch_scc0 .LBB0_67
.LBB0_3:                                ; =>This Inner Loop Header: Depth=1
	.loc	1 25 29                         ; log_softmax_aot.py:25:29
	v_add_u32_e32 v70, s6, v72
	.loc	1 27 61                         ; log_softmax_aot.py:27:61
	v_cmp_gt_i32_e32 vcc, s7, v70
	.loc	1 29 22                         ; log_softmax_aot.py:29:22
	v_mov_b32_e32 v66, 0xff800000
	.loc	1 27 41                         ; log_softmax_aot.py:27:41
	s_and_b64 s[10:11], s[16:17], vcc
	v_mov_b32_e32 v67, v66
	.loc	1 29 22                         ; log_softmax_aot.py:29:22
	s_and_saveexec_b64 s[0:1], s[10:11]
	s_cbranch_execz .LBB0_5
; %bb.4:                                ;   in Loop: Header=BB0_3 Depth=1
	.loc	1 0 22 is_stmt 0                ; log_softmax_aot.py:0:22
	v_add_u32_e32 v68, s42, v97
	v_ashrrev_i32_e32 v69, 31, v68
	v_lshl_add_u64 v[68:69], v[68:69], 2, s[4:5]
	.loc	1 29 22                         ; log_softmax_aot.py:29:22
	global_load_dword v67, v[68:69], off
.LBB0_5:                                ;   in Loop: Header=BB0_3 Depth=1
	.loc	1 0 22                          ; log_softmax_aot.py:0:22
	s_or_b64 exec, exec, s[0:1]
	.loc	1 25 29 is_stmt 1               ; log_softmax_aot.py:25:29
	v_add_u32_e32 v68, 0x100, v70
	.loc	1 27 61                         ; log_softmax_aot.py:27:61
	v_cmp_gt_i32_e64 s[0:1], s7, v68
	.loc	1 27 41 is_stmt 0               ; log_softmax_aot.py:27:41
	s_and_b64 s[12:13], s[16:17], s[0:1]
	.loc	1 29 22 is_stmt 1               ; log_softmax_aot.py:29:22
	s_and_saveexec_b64 s[10:11], s[12:13]
	s_cbranch_execz .LBB0_7
; %bb.6:                                ;   in Loop: Header=BB0_3 Depth=1
	.loc	1 26 69                         ; log_softmax_aot.py:26:69
	v_add_u32_e32 v68, s42, v96
	.loc	1 28 33                         ; log_softmax_aot.py:28:33
	v_ashrrev_i32_e32 v69, 31, v68
	v_lshl_add_u64 v[68:69], v[68:69], 2, s[4:5]
	.loc	1 29 22                         ; log_softmax_aot.py:29:22
	global_load_dword v66, v[68:69], off
.LBB0_7:                                ;   in Loop: Header=BB0_3 Depth=1
	.loc	1 0 22 is_stmt 0                ; log_softmax_aot.py:0:22
	s_or_b64 exec, exec, s[10:11]
	.loc	1 25 29 is_stmt 1               ; log_softmax_aot.py:25:29
	v_add_u32_e32 v68, 0x200, v70
	.loc	1 27 61                         ; log_softmax_aot.py:27:61
	v_cmp_gt_i32_e64 s[10:11], s7, v68
	.loc	1 29 22                         ; log_softmax_aot.py:29:22
	v_mov_b32_e32 v68, 0xff800000
	.loc	1 27 41                         ; log_softmax_aot.py:27:41
	s_and_b64 s[36:37], s[16:17], s[10:11]
	v_mov_b32_e32 v69, v68
	.loc	1 29 22                         ; log_softmax_aot.py:29:22
	s_and_saveexec_b64 s[12:13], s[36:37]
	s_cbranch_execz .LBB0_9
; %bb.8:                                ;   in Loop: Header=BB0_3 Depth=1
	.loc	1 26 69                         ; log_softmax_aot.py:26:69
	v_add_u32_e32 v108, s42, v88
	.loc	1 28 33                         ; log_softmax_aot.py:28:33
	v_ashrrev_i32_e32 v109, 31, v108
	v_lshl_add_u64 v[108:109], v[108:109], 2, s[4:5]
	.loc	1 29 22                         ; log_softmax_aot.py:29:22
	global_load_dword v69, v[108:109], off
.LBB0_9:                                ;   in Loop: Header=BB0_3 Depth=1
	.loc	1 0 22 is_stmt 0                ; log_softmax_aot.py:0:22
	s_or_b64 exec, exec, s[12:13]
	.loc	1 26 65 is_stmt 1               ; log_softmax_aot.py:26:65
	v_add_u32_e32 v70, 0x300, v70
	.loc	1 27 61                         ; log_softmax_aot.py:27:61
	v_cmp_gt_i32_e64 s[12:13], s7, v70
	.loc	1 27 41 is_stmt 0               ; log_softmax_aot.py:27:41
	s_and_b64 s[44:45], s[16:17], s[12:13]
	.loc	1 29 22 is_stmt 1               ; log_softmax_aot.py:29:22
	s_and_saveexec_b64 s[36:37], s[44:45]
	s_cbranch_execz .LBB0_11
; %bb.10:                               ;   in Loop: Header=BB0_3 Depth=1
	.loc	1 26 69                         ; log_softmax_aot.py:26:69
	v_add_u32_e32 v70, s42, v80
	.loc	1 28 33                         ; log_softmax_aot.py:28:33
	v_ashrrev_i32_e32 v71, 31, v70
	v_lshl_add_u64 v[70:71], v[70:71], 2, s[4:5]
	.loc	1 29 22                         ; log_softmax_aot.py:29:22
	global_load_dword v68, v[70:71], off
.LBB0_11:                               ;   in Loop: Header=BB0_3 Depth=1
	.loc	1 0 22 is_stmt 0                ; log_softmax_aot.py:0:22
	s_or_b64 exec, exec, s[36:37]
	.loc	1 29 22                         ; log_softmax_aot.py:29:22
	v_mov_b32_e32 v70, 0xff800000
	.loc	1 27 41 is_stmt 1               ; log_softmax_aot.py:27:41
	s_and_b64 s[44:45], s[18:19], vcc
	v_mov_b32_e32 v71, v70
	.loc	1 29 22                         ; log_softmax_aot.py:29:22
	s_and_saveexec_b64 s[36:37], s[44:45]
	s_cbranch_execz .LBB0_13
; %bb.12:                               ;   in Loop: Header=BB0_3 Depth=1
	.loc	1 26 69                         ; log_softmax_aot.py:26:69
	v_add_u32_e32 v108, s42, v104
	.loc	1 28 33                         ; log_softmax_aot.py:28:33
	v_ashrrev_i32_e32 v109, 31, v108
	v_lshl_add_u64 v[108:109], v[108:109], 2, s[4:5]
	.loc	1 29 22                         ; log_softmax_aot.py:29:22
	global_load_dword v71, v[108:109], off
.LBB0_13:                               ;   in Loop: Header=BB0_3 Depth=1
	.loc	1 0 22 is_stmt 0                ; log_softmax_aot.py:0:22
	s_or_b64 exec, exec, s[36:37]
	.loc	1 27 41 is_stmt 1               ; log_softmax_aot.py:27:41
	s_and_b64 s[44:45], s[18:19], s[0:1]
	.loc	1 29 22                         ; log_softmax_aot.py:29:22
	s_and_saveexec_b64 s[36:37], s[44:45]
	s_cbranch_execz .LBB0_15
; %bb.14:                               ;   in Loop: Header=BB0_3 Depth=1
	.loc	1 26 69                         ; log_softmax_aot.py:26:69
	v_add_u32_e32 v108, s42, v95
	.loc	1 28 33                         ; log_softmax_aot.py:28:33
	v_ashrrev_i32_e32 v109, 31, v108
	v_lshl_add_u64 v[108:109], v[108:109], 2, s[4:5]
	.loc	1 29 22                         ; log_softmax_aot.py:29:22
	global_load_dword v70, v[108:109], off
.LBB0_15:                               ;   in Loop: Header=BB0_3 Depth=1
	.loc	1 0 22 is_stmt 0                ; log_softmax_aot.py:0:22
	s_or_b64 exec, exec, s[36:37]
	.loc	1 29 22                         ; log_softmax_aot.py:29:22
	v_mov_b32_e32 v139, 0xff800000
	.loc	1 27 41 is_stmt 1               ; log_softmax_aot.py:27:41
	s_and_b64 s[44:45], s[18:19], s[10:11]
	v_mov_b32_e32 v140, v139
	.loc	1 29 22                         ; log_softmax_aot.py:29:22
	s_and_saveexec_b64 s[36:37], s[44:45]
	s_cbranch_execz .LBB0_17
; %bb.16:                               ;   in Loop: Header=BB0_3 Depth=1
	.loc	1 26 69                         ; log_softmax_aot.py:26:69
	v_add_u32_e32 v108, s42, v87
	.loc	1 28 33                         ; log_softmax_aot.py:28:33
	v_ashrrev_i32_e32 v109, 31, v108
	v_lshl_add_u64 v[108:109], v[108:109], 2, s[4:5]
	.loc	1 29 22                         ; log_softmax_aot.py:29:22
	global_load_dword v140, v[108:109], off
.LBB0_17:                               ;   in Loop: Header=BB0_3 Depth=1
	.loc	1 0 22 is_stmt 0                ; log_softmax_aot.py:0:22
	s_or_b64 exec, exec, s[36:37]
	.loc	1 27 41 is_stmt 1               ; log_softmax_aot.py:27:41
	s_and_b64 s[44:45], s[18:19], s[12:13]
	.loc	1 29 22                         ; log_softmax_aot.py:29:22
	s_and_saveexec_b64 s[36:37], s[44:45]
	s_cbranch_execz .LBB0_19
; %bb.18:                               ;   in Loop: Header=BB0_3 Depth=1
	.loc	1 26 69                         ; log_softmax_aot.py:26:69
	v_add_u32_e32 v108, s42, v79
	.loc	1 28 33                         ; log_softmax_aot.py:28:33
	v_ashrrev_i32_e32 v109, 31, v108
	v_lshl_add_u64 v[108:109], v[108:109], 2, s[4:5]
	.loc	1 29 22                         ; log_softmax_aot.py:29:22
	global_load_dword v139, v[108:109], off
.LBB0_19:                               ;   in Loop: Header=BB0_3 Depth=1
	.loc	1 0 22 is_stmt 0                ; log_softmax_aot.py:0:22
	s_or_b64 exec, exec, s[36:37]
	.loc	1 29 22                         ; log_softmax_aot.py:29:22
	v_mov_b32_e32 v141, 0xff800000
	.loc	1 27 41 is_stmt 1               ; log_softmax_aot.py:27:41
	s_and_b64 s[44:45], s[20:21], vcc
	v_mov_b32_e32 v142, v141
	.loc	1 29 22                         ; log_softmax_aot.py:29:22
	s_and_saveexec_b64 s[36:37], s[44:45]
	s_cbranch_execz .LBB0_21
; %bb.20:                               ;   in Loop: Header=BB0_3 Depth=1
	.loc	1 26 69                         ; log_softmax_aot.py:26:69
	v_add_u32_e32 v108, s42, v103
	.loc	1 28 33                         ; log_softmax_aot.py:28:33
	v_ashrrev_i32_e32 v109, 31, v108
	v_lshl_add_u64 v[108:109], v[108:109], 2, s[4:5]
	.loc	1 29 22                         ; log_softmax_aot.py:29:22
	global_load_dword v142, v[108:109], off
.LBB0_21:                               ;   in Loop: Header=BB0_3 Depth=1
	.loc	1 0 22 is_stmt 0                ; log_softmax_aot.py:0:22
	s_or_b64 exec, exec, s[36:37]
	.loc	1 27 41 is_stmt 1               ; log_softmax_aot.py:27:41
	s_and_b64 s[44:45], s[20:21], s[0:1]
	.loc	1 29 22                         ; log_softmax_aot.py:29:22
	s_and_saveexec_b64 s[36:37], s[44:45]
	s_cbranch_execz .LBB0_23
; %bb.22:                               ;   in Loop: Header=BB0_3 Depth=1
	.loc	1 26 69                         ; log_softmax_aot.py:26:69
	v_add_u32_e32 v108, s42, v94
	.loc	1 28 33                         ; log_softmax_aot.py:28:33
	v_ashrrev_i32_e32 v109, 31, v108
	v_lshl_add_u64 v[108:109], v[108:109], 2, s[4:5]
	.loc	1 29 22                         ; log_softmax_aot.py:29:22
	global_load_dword v141, v[108:109], off
.LBB0_23:                               ;   in Loop: Header=BB0_3 Depth=1
	.loc	1 0 22 is_stmt 0                ; log_softmax_aot.py:0:22
	s_or_b64 exec, exec, s[36:37]
	.loc	1 29 22                         ; log_softmax_aot.py:29:22
	v_mov_b32_e32 v143, 0xff800000
	.loc	1 27 41 is_stmt 1               ; log_softmax_aot.py:27:41
	s_and_b64 s[44:45], s[20:21], s[10:11]
	v_mov_b32_e32 v144, v143
	.loc	1 29 22                         ; log_softmax_aot.py:29:22
	s_and_saveexec_b64 s[36:37], s[44:45]
	s_cbranch_execz .LBB0_25
; %bb.24:                               ;   in Loop: Header=BB0_3 Depth=1
	.loc	1 26 69                         ; log_softmax_aot.py:26:69
	v_add_u32_e32 v108, s42, v86
	.loc	1 28 33                         ; log_softmax_aot.py:28:33
	v_ashrrev_i32_e32 v109, 31, v108
	v_lshl_add_u64 v[108:109], v[108:109], 2, s[4:5]
	.loc	1 29 22                         ; log_softmax_aot.py:29:22
	global_load_dword v144, v[108:109], off
.LBB0_25:                               ;   in Loop: Header=BB0_3 Depth=1
	.loc	1 0 22 is_stmt 0                ; log_softmax_aot.py:0:22
	s_or_b64 exec, exec, s[36:37]
	.loc	1 27 41 is_stmt 1               ; log_softmax_aot.py:27:41
	s_and_b64 s[44:45], s[20:21], s[12:13]
	.loc	1 29 22                         ; log_softmax_aot.py:29:22
	s_and_saveexec_b64 s[36:37], s[44:45]
	s_cbranch_execz .LBB0_27
; %bb.26:                               ;   in Loop: Header=BB0_3 Depth=1
	.loc	1 26 69                         ; log_softmax_aot.py:26:69
	v_add_u32_e32 v108, s42, v78
	.loc	1 28 33                         ; log_softmax_aot.py:28:33
	v_ashrrev_i32_e32 v109, 31, v108
	v_lshl_add_u64 v[108:109], v[108:109], 2, s[4:5]
	.loc	1 29 22                         ; log_softmax_aot.py:29:22
	global_load_dword v143, v[108:109], off
.LBB0_27:                               ;   in Loop: Header=BB0_3 Depth=1
	.loc	1 0 22 is_stmt 0                ; log_softmax_aot.py:0:22
	s_or_b64 exec, exec, s[36:37]
	.loc	1 29 22                         ; log_softmax_aot.py:29:22
	v_mov_b32_e32 v145, 0xff800000
	.loc	1 27 41 is_stmt 1               ; log_softmax_aot.py:27:41
	s_and_b64 s[44:45], s[22:23], vcc
	v_mov_b32_e32 v146, v145
	.loc	1 29 22                         ; log_softmax_aot.py:29:22
	s_and_saveexec_b64 s[36:37], s[44:45]
	s_cbranch_execz .LBB0_29
; %bb.28:                               ;   in Loop: Header=BB0_3 Depth=1
	.loc	1 26 69                         ; log_softmax_aot.py:26:69
	v_add_u32_e32 v108, s42, v102
	.loc	1 28 33                         ; log_softmax_aot.py:28:33
	v_ashrrev_i32_e32 v109, 31, v108
	v_lshl_add_u64 v[108:109], v[108:109], 2, s[4:5]
	.loc	1 29 22                         ; log_softmax_aot.py:29:22
	global_load_dword v146, v[108:109], off
.LBB0_29:                               ;   in Loop: Header=BB0_3 Depth=1
	.loc	1 0 22 is_stmt 0                ; log_softmax_aot.py:0:22
	s_or_b64 exec, exec, s[36:37]
	.loc	1 27 41 is_stmt 1               ; log_softmax_aot.py:27:41
	s_and_b64 s[44:45], s[22:23], s[0:1]
	.loc	1 29 22                         ; log_softmax_aot.py:29:22
	s_and_saveexec_b64 s[36:37], s[44:45]
	s_cbranch_execz .LBB0_31
; %bb.30:                               ;   in Loop: Header=BB0_3 Depth=1
	.loc	1 26 69                         ; log_softmax_aot.py:26:69
	v_add_u32_e32 v108, s42, v93
	.loc	1 28 33                         ; log_softmax_aot.py:28:33
	v_ashrrev_i32_e32 v109, 31, v108
	v_lshl_add_u64 v[108:109], v[108:109], 2, s[4:5]
	.loc	1 29 22                         ; log_softmax_aot.py:29:22
	global_load_dword v145, v[108:109], off
.LBB0_31:                               ;   in Loop: Header=BB0_3 Depth=1
	.loc	1 0 22 is_stmt 0                ; log_softmax_aot.py:0:22
	s_or_b64 exec, exec, s[36:37]
	.loc	1 29 22                         ; log_softmax_aot.py:29:22
	v_mov_b32_e32 v147, 0xff800000
	.loc	1 27 41 is_stmt 1               ; log_softmax_aot.py:27:41
	s_and_b64 s[44:45], s[22:23], s[10:11]
	v_mov_b32_e32 v148, v147
	.loc	1 29 22                         ; log_softmax_aot.py:29:22
	s_and_saveexec_b64 s[36:37], s[44:45]
	s_cbranch_execz .LBB0_33
; %bb.32:                               ;   in Loop: Header=BB0_3 Depth=1
	.loc	1 26 69                         ; log_softmax_aot.py:26:69
	v_add_u32_e32 v108, s42, v85
	.loc	1 28 33                         ; log_softmax_aot.py:28:33
	v_ashrrev_i32_e32 v109, 31, v108
	v_lshl_add_u64 v[108:109], v[108:109], 2, s[4:5]
	.loc	1 29 22                         ; log_softmax_aot.py:29:22
	global_load_dword v148, v[108:109], off
.LBB0_33:                               ;   in Loop: Header=BB0_3 Depth=1
	.loc	1 0 22 is_stmt 0                ; log_softmax_aot.py:0:22
	s_or_b64 exec, exec, s[36:37]
	.loc	1 27 41 is_stmt 1               ; log_softmax_aot.py:27:41
	s_and_b64 s[44:45], s[22:23], s[12:13]
	.loc	1 29 22                         ; log_softmax_aot.py:29:22
	s_and_saveexec_b64 s[36:37], s[44:45]
	s_cbranch_execz .LBB0_35
; %bb.34:                               ;   in Loop: Header=BB0_3 Depth=1
	.loc	1 26 69                         ; log_softmax_aot.py:26:69
	v_add_u32_e32 v108, s42, v77
	.loc	1 28 33                         ; log_softmax_aot.py:28:33
	v_ashrrev_i32_e32 v109, 31, v108
	v_lshl_add_u64 v[108:109], v[108:109], 2, s[4:5]
	.loc	1 29 22                         ; log_softmax_aot.py:29:22
	global_load_dword v147, v[108:109], off
.LBB0_35:                               ;   in Loop: Header=BB0_3 Depth=1
	.loc	1 0 22 is_stmt 0                ; log_softmax_aot.py:0:22
	s_or_b64 exec, exec, s[36:37]
	.loc	1 29 22                         ; log_softmax_aot.py:29:22
	v_mov_b32_e32 v149, 0xff800000
	.loc	1 27 41 is_stmt 1               ; log_softmax_aot.py:27:41
	s_and_b64 s[44:45], s[24:25], vcc
	v_mov_b32_e32 v150, v149
	.loc	1 29 22                         ; log_softmax_aot.py:29:22
	s_and_saveexec_b64 s[36:37], s[44:45]
	s_cbranch_execz .LBB0_37
; %bb.36:                               ;   in Loop: Header=BB0_3 Depth=1
	.loc	1 26 69                         ; log_softmax_aot.py:26:69
	v_add_u32_e32 v108, s42, v101
	.loc	1 28 33                         ; log_softmax_aot.py:28:33
	v_ashrrev_i32_e32 v109, 31, v108
	v_lshl_add_u64 v[108:109], v[108:109], 2, s[4:5]
	.loc	1 29 22                         ; log_softmax_aot.py:29:22
	global_load_dword v150, v[108:109], off
.LBB0_37:                               ;   in Loop: Header=BB0_3 Depth=1
	.loc	1 0 22 is_stmt 0                ; log_softmax_aot.py:0:22
	s_or_b64 exec, exec, s[36:37]
	.loc	1 27 41 is_stmt 1               ; log_softmax_aot.py:27:41
	s_and_b64 s[44:45], s[24:25], s[0:1]
	.loc	1 29 22                         ; log_softmax_aot.py:29:22
	s_and_saveexec_b64 s[36:37], s[44:45]
	s_cbranch_execz .LBB0_39
; %bb.38:                               ;   in Loop: Header=BB0_3 Depth=1
	.loc	1 26 69                         ; log_softmax_aot.py:26:69
	v_add_u32_e32 v108, s42, v92
	.loc	1 28 33                         ; log_softmax_aot.py:28:33
	v_ashrrev_i32_e32 v109, 31, v108
	v_lshl_add_u64 v[108:109], v[108:109], 2, s[4:5]
	.loc	1 29 22                         ; log_softmax_aot.py:29:22
	global_load_dword v149, v[108:109], off
.LBB0_39:                               ;   in Loop: Header=BB0_3 Depth=1
	.loc	1 0 22 is_stmt 0                ; log_softmax_aot.py:0:22
	s_or_b64 exec, exec, s[36:37]
	.loc	1 29 22                         ; log_softmax_aot.py:29:22
	v_mov_b32_e32 v151, 0xff800000
	.loc	1 27 41 is_stmt 1               ; log_softmax_aot.py:27:41
	s_and_b64 s[44:45], s[24:25], s[10:11]
	v_mov_b32_e32 v152, v151
	.loc	1 29 22                         ; log_softmax_aot.py:29:22
	s_and_saveexec_b64 s[36:37], s[44:45]
	s_cbranch_execz .LBB0_41
; %bb.40:                               ;   in Loop: Header=BB0_3 Depth=1
	.loc	1 26 69                         ; log_softmax_aot.py:26:69
	v_add_u32_e32 v108, s42, v84
	.loc	1 28 33                         ; log_softmax_aot.py:28:33
	v_ashrrev_i32_e32 v109, 31, v108
	v_lshl_add_u64 v[108:109], v[108:109], 2, s[4:5]
	.loc	1 29 22                         ; log_softmax_aot.py:29:22
	global_load_dword v152, v[108:109], off
.LBB0_41:                               ;   in Loop: Header=BB0_3 Depth=1
	.loc	1 0 22 is_stmt 0                ; log_softmax_aot.py:0:22
	s_or_b64 exec, exec, s[36:37]
	.loc	1 27 41 is_stmt 1               ; log_softmax_aot.py:27:41
	s_and_b64 s[44:45], s[24:25], s[12:13]
	.loc	1 29 22                         ; log_softmax_aot.py:29:22
	s_and_saveexec_b64 s[36:37], s[44:45]
	s_cbranch_execz .LBB0_43
; %bb.42:                               ;   in Loop: Header=BB0_3 Depth=1
	.loc	1 26 69                         ; log_softmax_aot.py:26:69
	v_add_u32_e32 v108, s42, v76
	.loc	1 28 33                         ; log_softmax_aot.py:28:33
	v_ashrrev_i32_e32 v109, 31, v108
	v_lshl_add_u64 v[108:109], v[108:109], 2, s[4:5]
	.loc	1 29 22                         ; log_softmax_aot.py:29:22
	global_load_dword v151, v[108:109], off
.LBB0_43:                               ;   in Loop: Header=BB0_3 Depth=1
	.loc	1 0 22 is_stmt 0                ; log_softmax_aot.py:0:22
	s_or_b64 exec, exec, s[36:37]
	.loc	1 29 22                         ; log_softmax_aot.py:29:22
	v_mov_b32_e32 v153, 0xff800000
	.loc	1 27 41 is_stmt 1               ; log_softmax_aot.py:27:41
	s_and_b64 s[44:45], s[26:27], vcc
	v_mov_b32_e32 v154, v153
	.loc	1 29 22                         ; log_softmax_aot.py:29:22
	s_and_saveexec_b64 s[36:37], s[44:45]
	s_cbranch_execz .LBB0_45
; %bb.44:                               ;   in Loop: Header=BB0_3 Depth=1
	.loc	1 26 69                         ; log_softmax_aot.py:26:69
	v_add_u32_e32 v108, s42, v100
	.loc	1 28 33                         ; log_softmax_aot.py:28:33
	v_ashrrev_i32_e32 v109, 31, v108
	v_lshl_add_u64 v[108:109], v[108:109], 2, s[4:5]
	.loc	1 29 22                         ; log_softmax_aot.py:29:22
	global_load_dword v154, v[108:109], off
.LBB0_45:                               ;   in Loop: Header=BB0_3 Depth=1
	.loc	1 0 22 is_stmt 0                ; log_softmax_aot.py:0:22
	s_or_b64 exec, exec, s[36:37]
	.loc	1 27 41 is_stmt 1               ; log_softmax_aot.py:27:41
	s_and_b64 s[44:45], s[26:27], s[0:1]
	.loc	1 29 22                         ; log_softmax_aot.py:29:22
	s_and_saveexec_b64 s[36:37], s[44:45]
	s_cbranch_execz .LBB0_47
; %bb.46:                               ;   in Loop: Header=BB0_3 Depth=1
	.loc	1 26 69                         ; log_softmax_aot.py:26:69
	v_add_u32_e32 v108, s42, v91
	.loc	1 28 33                         ; log_softmax_aot.py:28:33
	v_ashrrev_i32_e32 v109, 31, v108
	v_lshl_add_u64 v[108:109], v[108:109], 2, s[4:5]
	.loc	1 29 22                         ; log_softmax_aot.py:29:22
	global_load_dword v153, v[108:109], off
.LBB0_47:                               ;   in Loop: Header=BB0_3 Depth=1
	.loc	1 0 22 is_stmt 0                ; log_softmax_aot.py:0:22
	s_or_b64 exec, exec, s[36:37]
	.loc	1 29 22                         ; log_softmax_aot.py:29:22
	v_mov_b32_e32 v155, 0xff800000
	.loc	1 27 41 is_stmt 1               ; log_softmax_aot.py:27:41
	s_and_b64 s[44:45], s[26:27], s[10:11]
	v_mov_b32_e32 v156, v155
	.loc	1 29 22                         ; log_softmax_aot.py:29:22
	s_and_saveexec_b64 s[36:37], s[44:45]
	s_cbranch_execz .LBB0_49
; %bb.48:                               ;   in Loop: Header=BB0_3 Depth=1
	.loc	1 26 69                         ; log_softmax_aot.py:26:69
	v_add_u32_e32 v108, s42, v83
	.loc	1 28 33                         ; log_softmax_aot.py:28:33
	v_ashrrev_i32_e32 v109, 31, v108
	v_lshl_add_u64 v[108:109], v[108:109], 2, s[4:5]
	.loc	1 29 22                         ; log_softmax_aot.py:29:22
	global_load_dword v156, v[108:109], off
.LBB0_49:                               ;   in Loop: Header=BB0_3 Depth=1
	.loc	1 0 22 is_stmt 0                ; log_softmax_aot.py:0:22
	s_or_b64 exec, exec, s[36:37]
	.loc	1 27 41 is_stmt 1               ; log_softmax_aot.py:27:41
	s_and_b64 s[44:45], s[26:27], s[12:13]
	.loc	1 29 22                         ; log_softmax_aot.py:29:22
	s_and_saveexec_b64 s[36:37], s[44:45]
	s_cbranch_execz .LBB0_51
; %bb.50:                               ;   in Loop: Header=BB0_3 Depth=1
	.loc	1 26 69                         ; log_softmax_aot.py:26:69
	v_add_u32_e32 v108, s42, v75
	.loc	1 28 33                         ; log_softmax_aot.py:28:33
	v_ashrrev_i32_e32 v109, 31, v108
	v_lshl_add_u64 v[108:109], v[108:109], 2, s[4:5]
	.loc	1 29 22                         ; log_softmax_aot.py:29:22
	global_load_dword v155, v[108:109], off
.LBB0_51:                               ;   in Loop: Header=BB0_3 Depth=1
	.loc	1 0 22 is_stmt 0                ; log_softmax_aot.py:0:22
	s_or_b64 exec, exec, s[36:37]
	.loc	1 29 22                         ; log_softmax_aot.py:29:22
	v_mov_b32_e32 v157, 0xff800000
	.loc	1 27 41 is_stmt 1               ; log_softmax_aot.py:27:41
	s_and_b64 s[44:45], s[28:29], vcc
	v_mov_b32_e32 v158, v157
	.loc	1 29 22                         ; log_softmax_aot.py:29:22
	s_and_saveexec_b64 s[36:37], s[44:45]
	s_cbranch_execz .LBB0_53
; %bb.52:                               ;   in Loop: Header=BB0_3 Depth=1
	.loc	1 26 69                         ; log_softmax_aot.py:26:69
	v_add_u32_e32 v108, s42, v99
	.loc	1 28 33                         ; log_softmax_aot.py:28:33
	v_ashrrev_i32_e32 v109, 31, v108
	v_lshl_add_u64 v[108:109], v[108:109], 2, s[4:5]
	.loc	1 29 22                         ; log_softmax_aot.py:29:22
	global_load_dword v158, v[108:109], off
.LBB0_53:                               ;   in Loop: Header=BB0_3 Depth=1
	.loc	1 0 22 is_stmt 0                ; log_softmax_aot.py:0:22
	s_or_b64 exec, exec, s[36:37]
	.loc	1 27 41 is_stmt 1               ; log_softmax_aot.py:27:41
	s_and_b64 s[44:45], s[28:29], s[0:1]
	.loc	1 29 22                         ; log_softmax_aot.py:29:22
	s_and_saveexec_b64 s[36:37], s[44:45]
	s_cbranch_execz .LBB0_55
; %bb.54:                               ;   in Loop: Header=BB0_3 Depth=1
	.loc	1 26 69                         ; log_softmax_aot.py:26:69
	v_add_u32_e32 v108, s42, v90
	.loc	1 28 33                         ; log_softmax_aot.py:28:33
	v_ashrrev_i32_e32 v109, 31, v108
	v_lshl_add_u64 v[108:109], v[108:109], 2, s[4:5]
	.loc	1 29 22                         ; log_softmax_aot.py:29:22
	global_load_dword v157, v[108:109], off
.LBB0_55:                               ;   in Loop: Header=BB0_3 Depth=1
	.loc	1 0 22 is_stmt 0                ; log_softmax_aot.py:0:22
	s_or_b64 exec, exec, s[36:37]
	.loc	1 29 22                         ; log_softmax_aot.py:29:22
	v_mov_b32_e32 v159, 0xff800000
	.loc	1 27 41 is_stmt 1               ; log_softmax_aot.py:27:41
	s_and_b64 s[44:45], s[28:29], s[10:11]
	v_mov_b32_e32 v160, v159
	.loc	1 29 22                         ; log_softmax_aot.py:29:22
	s_and_saveexec_b64 s[36:37], s[44:45]
	s_cbranch_execz .LBB0_57
; %bb.56:                               ;   in Loop: Header=BB0_3 Depth=1
	.loc	1 26 69                         ; log_softmax_aot.py:26:69
	v_add_u32_e32 v108, s42, v82
	.loc	1 28 33                         ; log_softmax_aot.py:28:33
	v_ashrrev_i32_e32 v109, 31, v108
	v_lshl_add_u64 v[108:109], v[108:109], 2, s[4:5]
	.loc	1 29 22                         ; log_softmax_aot.py:29:22
	global_load_dword v160, v[108:109], off
.LBB0_57:                               ;   in Loop: Header=BB0_3 Depth=1
	.loc	1 0 22 is_stmt 0                ; log_softmax_aot.py:0:22
	s_or_b64 exec, exec, s[36:37]
	.loc	1 27 41 is_stmt 1               ; log_softmax_aot.py:27:41
	s_and_b64 s[44:45], s[28:29], s[12:13]
	.loc	1 29 22                         ; log_softmax_aot.py:29:22
	s_and_saveexec_b64 s[36:37], s[44:45]
	s_cbranch_execz .LBB0_59
; %bb.58:                               ;   in Loop: Header=BB0_3 Depth=1
	.loc	1 26 69                         ; log_softmax_aot.py:26:69
	v_add_u32_e32 v108, s42, v74
	.loc	1 28 33                         ; log_softmax_aot.py:28:33
	v_ashrrev_i32_e32 v109, 31, v108
	v_lshl_add_u64 v[108:109], v[108:109], 2, s[4:5]
	.loc	1 29 22                         ; log_softmax_aot.py:29:22
	global_load_dword v159, v[108:109], off
.LBB0_59:                               ;   in Loop: Header=BB0_3 Depth=1
	.loc	1 0 22 is_stmt 0                ; log_softmax_aot.py:0:22
	s_or_b64 exec, exec, s[36:37]
	.loc	1 29 22                         ; log_softmax_aot.py:29:22
	v_mov_b32_e32 v161, 0xff800000
	.loc	1 27 41 is_stmt 1               ; log_softmax_aot.py:27:41
	s_and_b64 s[44:45], s[30:31], vcc
	v_mov_b32_e32 v162, v161
	.loc	1 29 22                         ; log_softmax_aot.py:29:22
	s_and_saveexec_b64 s[36:37], s[44:45]
	s_cbranch_execz .LBB0_61
; %bb.60:                               ;   in Loop: Header=BB0_3 Depth=1
	.loc	1 26 69                         ; log_softmax_aot.py:26:69
	v_add_u32_e32 v108, s42, v98
	.loc	1 28 33                         ; log_softmax_aot.py:28:33
	v_ashrrev_i32_e32 v109, 31, v108
	v_lshl_add_u64 v[108:109], v[108:109], 2, s[4:5]
	.loc	1 29 22                         ; log_softmax_aot.py:29:22
	global_load_dword v162, v[108:109], off
.LBB0_61:                               ;   in Loop: Header=BB0_3 Depth=1
	.loc	1 0 22 is_stmt 0                ; log_softmax_aot.py:0:22
	s_or_b64 exec, exec, s[36:37]
	.loc	1 27 41 is_stmt 1               ; log_softmax_aot.py:27:41
	s_and_b64 s[36:37], s[30:31], s[0:1]
	.loc	1 29 22                         ; log_softmax_aot.py:29:22
	s_and_saveexec_b64 s[0:1], s[36:37]
	s_cbranch_execz .LBB0_63
; %bb.62:                               ;   in Loop: Header=BB0_3 Depth=1
	.loc	1 26 69                         ; log_softmax_aot.py:26:69
	v_add_u32_e32 v108, s42, v89
	.loc	1 28 33                         ; log_softmax_aot.py:28:33
	v_ashrrev_i32_e32 v109, 31, v108
	v_lshl_add_u64 v[108:109], v[108:109], 2, s[4:5]
	.loc	1 29 22                         ; log_softmax_aot.py:29:22
	global_load_dword v161, v[108:109], off
.LBB0_63:                               ;   in Loop: Header=BB0_3 Depth=1
	.loc	1 0 22 is_stmt 0                ; log_softmax_aot.py:0:22
	s_or_b64 exec, exec, s[0:1]
	.loc	1 29 22                         ; log_softmax_aot.py:29:22
	v_mov_b32_e32 v163, 0xff800000
	.loc	1 27 41 is_stmt 1               ; log_softmax_aot.py:27:41
	s_and_b64 s[10:11], s[30:31], s[10:11]
	v_mov_b32_e32 v164, v163
	.loc	1 29 22                         ; log_softmax_aot.py:29:22
	s_and_saveexec_b64 s[0:1], s[10:11]
	s_cbranch_execz .LBB0_65
; %bb.64:                               ;   in Loop: Header=BB0_3 Depth=1
	.loc	1 26 69                         ; log_softmax_aot.py:26:69
	v_add_u32_e32 v108, s42, v81
	.loc	1 28 33                         ; log_softmax_aot.py:28:33
	v_ashrrev_i32_e32 v109, 31, v108
	v_lshl_add_u64 v[108:109], v[108:109], 2, s[4:5]
	.loc	1 29 22                         ; log_softmax_aot.py:29:22
	global_load_dword v164, v[108:109], off
.LBB0_65:                               ;   in Loop: Header=BB0_3 Depth=1
	.loc	1 0 22 is_stmt 0                ; log_softmax_aot.py:0:22
	s_or_b64 exec, exec, s[0:1]
	.loc	1 27 41 is_stmt 1               ; log_softmax_aot.py:27:41
	s_and_b64 s[10:11], s[30:31], s[12:13]
	.loc	1 29 22                         ; log_softmax_aot.py:29:22
	s_and_saveexec_b64 s[0:1], s[10:11]
	s_cbranch_execz .LBB0_2
; %bb.66:                               ;   in Loop: Header=BB0_3 Depth=1
	.loc	1 27 61                         ; log_softmax_aot.py:27:61
	v_add_u32_e32 v108, s42, v73
	.loc	1 28 33                         ; log_softmax_aot.py:28:33
	v_ashrrev_i32_e32 v109, 31, v108
	v_lshl_add_u64 v[108:109], v[108:109], 2, s[4:5]
	.loc	1 29 22                         ; log_softmax_aot.py:29:22
	global_load_dword v163, v[108:109], off
	s_branch .LBB0_2
.LBB0_67:                               ; %._crit_edge
.Ltmp3:
	.loc	2 170 27                        ; standard.py:170:27 @[ standard.py:191:40 @[ log_softmax_aot.py:35:26 ] ]
	v_max_f32_e32 v34, v109, v109
	v_max_f32_e32 v35, v108, v108
	;; [unrolled: 1-line block ×20, first 2 shown]
	v_max3_f32 v34, v34, v110, v111
	v_max_f32_e32 v40, v41, v40
	v_max_f32_e32 v41, v137, v137
	;; [unrolled: 1-line block ×4, first 2 shown]
	v_max3_f32 v35, v35, v114, v115
.Ltmp4:
	.loc	2 191 40                        ; standard.py:191:40 @[ log_softmax_aot.py:35:26 ]
	v_mov_b32_dpp v42, v34 row_shr:8 row_mask:0xf bank_mask:0xf bound_ctrl:1
.Ltmp5:
	.loc	2 170 27                        ; standard.py:170:27 @[ standard.py:191:40 @[ log_softmax_aot.py:35:26 ] ]
	v_max_f32_e32 v42, v42, v42
	v_max_f32_e32 v34, v34, v42
	v_max3_f32 v36, v36, v118, v119
	v_max3_f32 v37, v37, v122, v123
.Ltmp6:
	.loc	2 191 40                        ; standard.py:191:40 @[ log_softmax_aot.py:35:26 ]
	v_mov_b32_dpp v42, v34 row_shr:4 row_mask:0xf bank_mask:0xf bound_ctrl:1
.Ltmp7:
	.loc	2 170 27                        ; standard.py:170:27 @[ standard.py:191:40 @[ log_softmax_aot.py:35:26 ] ]
	v_max_f32_e32 v42, v42, v42
	v_max_f32_e32 v34, v34, v42
	v_max3_f32 v38, v38, v126, v127
	v_max3_f32 v39, v39, v130, v131
.Ltmp8:
	.loc	2 191 40                        ; standard.py:191:40 @[ log_softmax_aot.py:35:26 ]
	v_mov_b32_dpp v42, v34 row_shr:2 row_mask:0xf bank_mask:0xf bound_ctrl:1
.Ltmp9:
	.loc	2 170 27                        ; standard.py:170:27 @[ standard.py:191:40 @[ log_softmax_aot.py:35:26 ] ]
	v_max_f32_e32 v42, v42, v42
	v_max_f32_e32 v34, v34, v42
	v_max3_f32 v40, v40, v134, v135
	v_max3_f32 v41, v41, v138, v107
.Ltmp10:
	.loc	2 191 40                        ; standard.py:191:40 @[ log_softmax_aot.py:35:26 ]
	v_mov_b32_dpp v42, v34 row_shr:1 row_mask:0xf bank_mask:0xf bound_ctrl:1
.Ltmp11:
	.loc	2 170 27                        ; standard.py:170:27 @[ standard.py:191:40 @[ log_softmax_aot.py:35:26 ] ]
	v_max_f32_e32 v42, v42, v42
	v_max_f32_e32 v34, v34, v42
.Ltmp12:
	.loc	2 191 40                        ; standard.py:191:40 @[ log_softmax_aot.py:35:26 ]
	v_mov_b32_e32 v42, v34
	s_lshr_b32 s0, s38, 4
	s_and_b32 s0, s0, 12
	v_mov_b32_dpp v42, v42 row_bcast:15 row_mask:0xa bank_mask:0xf bound_ctrl:1
.Ltmp13:
	.loc	2 170 27                        ; standard.py:170:27 @[ standard.py:191:40 @[ log_softmax_aot.py:35:26 ] ]
	v_max_f32_e32 v42, v42, v42
	v_max_f32_e32 v34, v34, v42
.Ltmp14:
	.loc	2 191 40                        ; standard.py:191:40 @[ log_softmax_aot.py:35:26 ]
	v_cmp_eq_u32_e32 vcc, 0, v1
	s_add_i32 s6, s0, 0
	v_mov_b32_dpp v42, v34 row_bcast:31 row_mask:0xf bank_mask:0xf bound_ctrl:1
.Ltmp15:
	.loc	2 170 27                        ; standard.py:170:27 @[ standard.py:191:40 @[ log_softmax_aot.py:35:26 ] ]
	v_max_f32_e32 v42, v42, v42
	v_max_f32_e32 v34, v34, v42
.Ltmp16:
	.loc	2 191 40                        ; standard.py:191:40 @[ log_softmax_aot.py:35:26 ]
	s_nop 0
	v_readlane_b32 s10, v34, 63
	v_mov_b32_dpp v34, v35 row_shr:8 row_mask:0xf bank_mask:0xf bound_ctrl:1
.Ltmp17:
	.loc	2 170 27                        ; standard.py:170:27 @[ standard.py:191:40 @[ log_softmax_aot.py:35:26 ] ]
	v_max_f32_e32 v34, v34, v34
	v_max_f32_e32 v34, v35, v34
.Ltmp18:
	.loc	2 191 40                        ; standard.py:191:40 @[ log_softmax_aot.py:35:26 ]
	s_nop 1
	v_mov_b32_dpp v35, v34 row_shr:4 row_mask:0xf bank_mask:0xf bound_ctrl:1
.Ltmp19:
	.loc	2 170 27                        ; standard.py:170:27 @[ standard.py:191:40 @[ log_softmax_aot.py:35:26 ] ]
	v_max_f32_e32 v35, v35, v35
	v_max_f32_e32 v34, v34, v35
.Ltmp20:
	.loc	2 191 40                        ; standard.py:191:40 @[ log_softmax_aot.py:35:26 ]
	s_nop 1
	v_mov_b32_dpp v35, v34 row_shr:2 row_mask:0xf bank_mask:0xf bound_ctrl:1
.Ltmp21:
	.loc	2 170 27                        ; standard.py:170:27 @[ standard.py:191:40 @[ log_softmax_aot.py:35:26 ] ]
	v_max_f32_e32 v35, v35, v35
	v_max_f32_e32 v34, v34, v35
.Ltmp22:
	.loc	2 191 40                        ; standard.py:191:40 @[ log_softmax_aot.py:35:26 ]
	s_nop 1
	v_mov_b32_dpp v35, v34 row_shr:1 row_mask:0xf bank_mask:0xf bound_ctrl:1
.Ltmp23:
	.loc	2 170 27                        ; standard.py:170:27 @[ standard.py:191:40 @[ log_softmax_aot.py:35:26 ] ]
	v_max_f32_e32 v35, v35, v35
	v_max_f32_e32 v34, v34, v35
.Ltmp24:
	.loc	2 191 40                        ; standard.py:191:40 @[ log_softmax_aot.py:35:26 ]
	v_mov_b32_e32 v35, v34
	s_nop 1
	v_mov_b32_dpp v35, v35 row_bcast:15 row_mask:0xa bank_mask:0xf bound_ctrl:1
.Ltmp25:
	.loc	2 170 27                        ; standard.py:170:27 @[ standard.py:191:40 @[ log_softmax_aot.py:35:26 ] ]
	v_max_f32_e32 v35, v35, v35
	v_max_f32_e32 v34, v34, v35
.Ltmp26:
	.loc	2 191 40                        ; standard.py:191:40 @[ log_softmax_aot.py:35:26 ]
	s_nop 1
	v_mov_b32_dpp v35, v34 row_bcast:31 row_mask:0xf bank_mask:0xf bound_ctrl:1
.Ltmp27:
	.loc	2 170 27                        ; standard.py:170:27 @[ standard.py:191:40 @[ log_softmax_aot.py:35:26 ] ]
	v_max_f32_e32 v35, v35, v35
	v_max_f32_e32 v34, v34, v35
.Ltmp28:
	.loc	2 191 40                        ; standard.py:191:40 @[ log_softmax_aot.py:35:26 ]
	s_nop 0
	v_readlane_b32 s11, v34, 63
	v_mov_b32_dpp v34, v36 row_shr:8 row_mask:0xf bank_mask:0xf bound_ctrl:1
.Ltmp29:
	.loc	2 170 27                        ; standard.py:170:27 @[ standard.py:191:40 @[ log_softmax_aot.py:35:26 ] ]
	v_max_f32_e32 v34, v34, v34
	v_max_f32_e32 v34, v36, v34
.Ltmp30:
	.loc	2 191 40                        ; standard.py:191:40 @[ log_softmax_aot.py:35:26 ]
	s_nop 1
	v_mov_b32_dpp v35, v34 row_shr:4 row_mask:0xf bank_mask:0xf bound_ctrl:1
.Ltmp31:
	.loc	2 170 27                        ; standard.py:170:27 @[ standard.py:191:40 @[ log_softmax_aot.py:35:26 ] ]
	v_max_f32_e32 v35, v35, v35
	v_max_f32_e32 v34, v34, v35
.Ltmp32:
	.loc	2 191 40                        ; standard.py:191:40 @[ log_softmax_aot.py:35:26 ]
	s_nop 1
	v_mov_b32_dpp v35, v34 row_shr:2 row_mask:0xf bank_mask:0xf bound_ctrl:1
.Ltmp33:
	.loc	2 170 27                        ; standard.py:170:27 @[ standard.py:191:40 @[ log_softmax_aot.py:35:26 ] ]
	v_max_f32_e32 v35, v35, v35
	v_max_f32_e32 v34, v34, v35
.Ltmp34:
	.loc	2 191 40                        ; standard.py:191:40 @[ log_softmax_aot.py:35:26 ]
	s_nop 1
	v_mov_b32_dpp v35, v34 row_shr:1 row_mask:0xf bank_mask:0xf bound_ctrl:1
.Ltmp35:
	.loc	2 170 27                        ; standard.py:170:27 @[ standard.py:191:40 @[ log_softmax_aot.py:35:26 ] ]
	v_max_f32_e32 v35, v35, v35
	v_max_f32_e32 v34, v34, v35
.Ltmp36:
	.loc	2 191 40                        ; standard.py:191:40 @[ log_softmax_aot.py:35:26 ]
	v_mov_b32_e32 v35, v34
	s_nop 1
	v_mov_b32_dpp v35, v35 row_bcast:15 row_mask:0xa bank_mask:0xf bound_ctrl:1
.Ltmp37:
	.loc	2 170 27                        ; standard.py:170:27 @[ standard.py:191:40 @[ log_softmax_aot.py:35:26 ] ]
	v_max_f32_e32 v35, v35, v35
	v_max_f32_e32 v34, v34, v35
.Ltmp38:
	.loc	2 191 40                        ; standard.py:191:40 @[ log_softmax_aot.py:35:26 ]
	s_nop 1
	v_mov_b32_dpp v35, v34 row_bcast:31 row_mask:0xf bank_mask:0xf bound_ctrl:1
.Ltmp39:
	.loc	2 170 27                        ; standard.py:170:27 @[ standard.py:191:40 @[ log_softmax_aot.py:35:26 ] ]
	v_max_f32_e32 v35, v35, v35
	v_max_f32_e32 v34, v34, v35
.Ltmp40:
	.loc	2 191 40                        ; standard.py:191:40 @[ log_softmax_aot.py:35:26 ]
	s_nop 0
	v_readlane_b32 s12, v34, 63
	v_mov_b32_dpp v34, v37 row_shr:8 row_mask:0xf bank_mask:0xf bound_ctrl:1
.Ltmp41:
	.loc	2 170 27                        ; standard.py:170:27 @[ standard.py:191:40 @[ log_softmax_aot.py:35:26 ] ]
	v_max_f32_e32 v34, v34, v34
	v_max_f32_e32 v34, v37, v34
.Ltmp42:
	.loc	2 191 40                        ; standard.py:191:40 @[ log_softmax_aot.py:35:26 ]
	s_nop 1
	v_mov_b32_dpp v35, v34 row_shr:4 row_mask:0xf bank_mask:0xf bound_ctrl:1
.Ltmp43:
	.loc	2 170 27                        ; standard.py:170:27 @[ standard.py:191:40 @[ log_softmax_aot.py:35:26 ] ]
	v_max_f32_e32 v35, v35, v35
	v_max_f32_e32 v34, v34, v35
.Ltmp44:
	.loc	2 191 40                        ; standard.py:191:40 @[ log_softmax_aot.py:35:26 ]
	s_nop 1
	v_mov_b32_dpp v35, v34 row_shr:2 row_mask:0xf bank_mask:0xf bound_ctrl:1
.Ltmp45:
	.loc	2 170 27                        ; standard.py:170:27 @[ standard.py:191:40 @[ log_softmax_aot.py:35:26 ] ]
	v_max_f32_e32 v35, v35, v35
	v_max_f32_e32 v34, v34, v35
.Ltmp46:
	.loc	2 191 40                        ; standard.py:191:40 @[ log_softmax_aot.py:35:26 ]
	s_nop 1
	v_mov_b32_dpp v35, v34 row_shr:1 row_mask:0xf bank_mask:0xf bound_ctrl:1
.Ltmp47:
	.loc	2 170 27                        ; standard.py:170:27 @[ standard.py:191:40 @[ log_softmax_aot.py:35:26 ] ]
	v_max_f32_e32 v35, v35, v35
	v_max_f32_e32 v34, v34, v35
.Ltmp48:
	.loc	2 191 40                        ; standard.py:191:40 @[ log_softmax_aot.py:35:26 ]
	v_mov_b32_e32 v35, v34
	s_nop 1
	v_mov_b32_dpp v35, v35 row_bcast:15 row_mask:0xa bank_mask:0xf bound_ctrl:1
.Ltmp49:
	.loc	2 170 27                        ; standard.py:170:27 @[ standard.py:191:40 @[ log_softmax_aot.py:35:26 ] ]
	v_max_f32_e32 v35, v35, v35
	v_max_f32_e32 v34, v34, v35
.Ltmp50:
	.loc	2 191 40                        ; standard.py:191:40 @[ log_softmax_aot.py:35:26 ]
	s_nop 1
	v_mov_b32_dpp v35, v34 row_bcast:31 row_mask:0xf bank_mask:0xf bound_ctrl:1
.Ltmp51:
	.loc	2 170 27                        ; standard.py:170:27 @[ standard.py:191:40 @[ log_softmax_aot.py:35:26 ] ]
	v_max_f32_e32 v35, v35, v35
	v_max_f32_e32 v34, v34, v35
.Ltmp52:
	.loc	2 191 40                        ; standard.py:191:40 @[ log_softmax_aot.py:35:26 ]
	s_nop 0
	v_readlane_b32 s13, v34, 63
	v_mov_b32_dpp v34, v38 row_shr:8 row_mask:0xf bank_mask:0xf bound_ctrl:1
.Ltmp53:
	.loc	2 170 27                        ; standard.py:170:27 @[ standard.py:191:40 @[ log_softmax_aot.py:35:26 ] ]
	v_max_f32_e32 v34, v34, v34
	v_max_f32_e32 v34, v38, v34
.Ltmp54:
	.loc	2 191 40                        ; standard.py:191:40 @[ log_softmax_aot.py:35:26 ]
	s_nop 1
	v_mov_b32_dpp v35, v34 row_shr:4 row_mask:0xf bank_mask:0xf bound_ctrl:1
.Ltmp55:
	.loc	2 170 27                        ; standard.py:170:27 @[ standard.py:191:40 @[ log_softmax_aot.py:35:26 ] ]
	v_max_f32_e32 v35, v35, v35
	v_max_f32_e32 v34, v34, v35
.Ltmp56:
	.loc	2 191 40                        ; standard.py:191:40 @[ log_softmax_aot.py:35:26 ]
	s_nop 1
	v_mov_b32_dpp v35, v34 row_shr:2 row_mask:0xf bank_mask:0xf bound_ctrl:1
.Ltmp57:
	.loc	2 170 27                        ; standard.py:170:27 @[ standard.py:191:40 @[ log_softmax_aot.py:35:26 ] ]
	v_max_f32_e32 v35, v35, v35
	v_max_f32_e32 v34, v34, v35
.Ltmp58:
	.loc	2 191 40                        ; standard.py:191:40 @[ log_softmax_aot.py:35:26 ]
	s_nop 1
	v_mov_b32_dpp v35, v34 row_shr:1 row_mask:0xf bank_mask:0xf bound_ctrl:1
.Ltmp59:
	.loc	2 170 27                        ; standard.py:170:27 @[ standard.py:191:40 @[ log_softmax_aot.py:35:26 ] ]
	v_max_f32_e32 v35, v35, v35
	v_max_f32_e32 v34, v34, v35
.Ltmp60:
	.loc	2 191 40                        ; standard.py:191:40 @[ log_softmax_aot.py:35:26 ]
	v_mov_b32_e32 v35, v34
	s_nop 1
	v_mov_b32_dpp v35, v35 row_bcast:15 row_mask:0xa bank_mask:0xf bound_ctrl:1
.Ltmp61:
	.loc	2 170 27                        ; standard.py:170:27 @[ standard.py:191:40 @[ log_softmax_aot.py:35:26 ] ]
	v_max_f32_e32 v35, v35, v35
	v_max_f32_e32 v34, v34, v35
.Ltmp62:
	.loc	2 191 40                        ; standard.py:191:40 @[ log_softmax_aot.py:35:26 ]
	s_nop 1
	v_mov_b32_dpp v35, v34 row_bcast:31 row_mask:0xf bank_mask:0xf bound_ctrl:1
.Ltmp63:
	.loc	2 170 27                        ; standard.py:170:27 @[ standard.py:191:40 @[ log_softmax_aot.py:35:26 ] ]
	v_max_f32_e32 v35, v35, v35
	v_max_f32_e32 v34, v34, v35
.Ltmp64:
	.loc	2 191 40                        ; standard.py:191:40 @[ log_softmax_aot.py:35:26 ]
	s_nop 0
	v_readlane_b32 s36, v34, 63
	v_mov_b32_dpp v34, v39 row_shr:8 row_mask:0xf bank_mask:0xf bound_ctrl:1
.Ltmp65:
	.loc	2 170 27                        ; standard.py:170:27 @[ standard.py:191:40 @[ log_softmax_aot.py:35:26 ] ]
	v_max_f32_e32 v34, v34, v34
	v_max_f32_e32 v34, v39, v34
.Ltmp66:
	.loc	2 191 40                        ; standard.py:191:40 @[ log_softmax_aot.py:35:26 ]
	s_nop 1
	v_mov_b32_dpp v35, v34 row_shr:4 row_mask:0xf bank_mask:0xf bound_ctrl:1
.Ltmp67:
	.loc	2 170 27                        ; standard.py:170:27 @[ standard.py:191:40 @[ log_softmax_aot.py:35:26 ] ]
	v_max_f32_e32 v35, v35, v35
	v_max_f32_e32 v34, v34, v35
.Ltmp68:
	.loc	2 191 40                        ; standard.py:191:40 @[ log_softmax_aot.py:35:26 ]
	s_nop 1
	v_mov_b32_dpp v35, v34 row_shr:2 row_mask:0xf bank_mask:0xf bound_ctrl:1
.Ltmp69:
	.loc	2 170 27                        ; standard.py:170:27 @[ standard.py:191:40 @[ log_softmax_aot.py:35:26 ] ]
	v_max_f32_e32 v35, v35, v35
	v_max_f32_e32 v34, v34, v35
.Ltmp70:
	.loc	2 191 40                        ; standard.py:191:40 @[ log_softmax_aot.py:35:26 ]
	s_nop 1
	v_mov_b32_dpp v35, v34 row_shr:1 row_mask:0xf bank_mask:0xf bound_ctrl:1
.Ltmp71:
	.loc	2 170 27                        ; standard.py:170:27 @[ standard.py:191:40 @[ log_softmax_aot.py:35:26 ] ]
	v_max_f32_e32 v35, v35, v35
	v_max_f32_e32 v34, v34, v35
.Ltmp72:
	.loc	2 191 40                        ; standard.py:191:40 @[ log_softmax_aot.py:35:26 ]
	v_mov_b32_e32 v35, v34
	s_nop 1
	v_mov_b32_dpp v35, v35 row_bcast:15 row_mask:0xa bank_mask:0xf bound_ctrl:1
.Ltmp73:
	.loc	2 170 27                        ; standard.py:170:27 @[ standard.py:191:40 @[ log_softmax_aot.py:35:26 ] ]
	v_max_f32_e32 v35, v35, v35
	v_max_f32_e32 v34, v34, v35
.Ltmp74:
	.loc	2 191 40                        ; standard.py:191:40 @[ log_softmax_aot.py:35:26 ]
	s_nop 1
	v_mov_b32_dpp v35, v34 row_bcast:31 row_mask:0xf bank_mask:0xf bound_ctrl:1
.Ltmp75:
	.loc	2 170 27                        ; standard.py:170:27 @[ standard.py:191:40 @[ log_softmax_aot.py:35:26 ] ]
	v_max_f32_e32 v35, v35, v35
	v_max_f32_e32 v34, v34, v35
.Ltmp76:
	.loc	2 191 40                        ; standard.py:191:40 @[ log_softmax_aot.py:35:26 ]
	s_nop 0
	v_readlane_b32 s37, v34, 63
	v_mov_b32_dpp v34, v40 row_shr:8 row_mask:0xf bank_mask:0xf bound_ctrl:1
.Ltmp77:
	.loc	2 170 27                        ; standard.py:170:27 @[ standard.py:191:40 @[ log_softmax_aot.py:35:26 ] ]
	v_max_f32_e32 v34, v34, v34
	v_max_f32_e32 v34, v40, v34
.Ltmp78:
	.loc	2 191 40                        ; standard.py:191:40 @[ log_softmax_aot.py:35:26 ]
	s_nop 1
	v_mov_b32_dpp v35, v34 row_shr:4 row_mask:0xf bank_mask:0xf bound_ctrl:1
.Ltmp79:
	.loc	2 170 27                        ; standard.py:170:27 @[ standard.py:191:40 @[ log_softmax_aot.py:35:26 ] ]
	v_max_f32_e32 v35, v35, v35
	v_max_f32_e32 v34, v34, v35
.Ltmp80:
	.loc	2 191 40                        ; standard.py:191:40 @[ log_softmax_aot.py:35:26 ]
	s_nop 1
	v_mov_b32_dpp v35, v34 row_shr:2 row_mask:0xf bank_mask:0xf bound_ctrl:1
.Ltmp81:
	.loc	2 170 27                        ; standard.py:170:27 @[ standard.py:191:40 @[ log_softmax_aot.py:35:26 ] ]
	v_max_f32_e32 v35, v35, v35
	v_max_f32_e32 v34, v34, v35
.Ltmp82:
	.loc	2 191 40                        ; standard.py:191:40 @[ log_softmax_aot.py:35:26 ]
	s_nop 1
	v_mov_b32_dpp v35, v34 row_shr:1 row_mask:0xf bank_mask:0xf bound_ctrl:1
.Ltmp83:
	.loc	2 170 27                        ; standard.py:170:27 @[ standard.py:191:40 @[ log_softmax_aot.py:35:26 ] ]
	v_max_f32_e32 v35, v35, v35
	v_max_f32_e32 v34, v34, v35
.Ltmp84:
	.loc	2 191 40                        ; standard.py:191:40 @[ log_softmax_aot.py:35:26 ]
	v_mov_b32_e32 v35, v34
	s_nop 1
	v_mov_b32_dpp v35, v35 row_bcast:15 row_mask:0xa bank_mask:0xf bound_ctrl:1
.Ltmp85:
	.loc	2 170 27                        ; standard.py:170:27 @[ standard.py:191:40 @[ log_softmax_aot.py:35:26 ] ]
	v_max_f32_e32 v35, v35, v35
	v_max_f32_e32 v34, v34, v35
.Ltmp86:
	.loc	2 191 40                        ; standard.py:191:40 @[ log_softmax_aot.py:35:26 ]
	s_nop 1
	v_mov_b32_dpp v35, v34 row_bcast:31 row_mask:0xf bank_mask:0xf bound_ctrl:1
.Ltmp87:
	.loc	2 170 27                        ; standard.py:170:27 @[ standard.py:191:40 @[ log_softmax_aot.py:35:26 ] ]
	v_max_f32_e32 v35, v35, v35
	v_max_f32_e32 v34, v34, v35
.Ltmp88:
	.loc	2 191 40                        ; standard.py:191:40 @[ log_softmax_aot.py:35:26 ]
	s_nop 0
	v_readlane_b32 s39, v34, 63
	v_mov_b32_dpp v34, v41 row_shr:8 row_mask:0xf bank_mask:0xf bound_ctrl:1
.Ltmp89:
	.loc	2 170 27                        ; standard.py:170:27 @[ standard.py:191:40 @[ log_softmax_aot.py:35:26 ] ]
	v_max_f32_e32 v34, v34, v34
	v_max_f32_e32 v34, v41, v34
.Ltmp90:
	.loc	2 191 40                        ; standard.py:191:40 @[ log_softmax_aot.py:35:26 ]
	s_nop 1
	v_mov_b32_dpp v35, v34 row_shr:4 row_mask:0xf bank_mask:0xf bound_ctrl:1
.Ltmp91:
	.loc	2 170 27                        ; standard.py:170:27 @[ standard.py:191:40 @[ log_softmax_aot.py:35:26 ] ]
	v_max_f32_e32 v35, v35, v35
	v_max_f32_e32 v34, v34, v35
.Ltmp92:
	.loc	2 191 40                        ; standard.py:191:40 @[ log_softmax_aot.py:35:26 ]
	s_nop 1
	v_mov_b32_dpp v35, v34 row_shr:2 row_mask:0xf bank_mask:0xf bound_ctrl:1
.Ltmp93:
	.loc	2 170 27                        ; standard.py:170:27 @[ standard.py:191:40 @[ log_softmax_aot.py:35:26 ] ]
	v_max_f32_e32 v35, v35, v35
	v_max_f32_e32 v34, v34, v35
.Ltmp94:
	.loc	2 191 40                        ; standard.py:191:40 @[ log_softmax_aot.py:35:26 ]
	s_nop 1
	v_mov_b32_dpp v35, v34 row_shr:1 row_mask:0xf bank_mask:0xf bound_ctrl:1
.Ltmp95:
	.loc	2 170 27                        ; standard.py:170:27 @[ standard.py:191:40 @[ log_softmax_aot.py:35:26 ] ]
	v_max_f32_e32 v35, v35, v35
	v_max_f32_e32 v34, v34, v35
.Ltmp96:
	.loc	2 191 40                        ; standard.py:191:40 @[ log_softmax_aot.py:35:26 ]
	v_mov_b32_e32 v35, v34
	s_nop 1
	v_mov_b32_dpp v35, v35 row_bcast:15 row_mask:0xa bank_mask:0xf bound_ctrl:1
.Ltmp97:
	.loc	2 170 27                        ; standard.py:170:27 @[ standard.py:191:40 @[ log_softmax_aot.py:35:26 ] ]
	v_max_f32_e32 v35, v35, v35
	v_max_f32_e32 v34, v34, v35
.Ltmp98:
	.loc	2 191 40                        ; standard.py:191:40 @[ log_softmax_aot.py:35:26 ]
	s_nop 1
	v_mov_b32_dpp v35, v34 row_bcast:31 row_mask:0xf bank_mask:0xf bound_ctrl:1
.Ltmp99:
	.loc	2 170 27                        ; standard.py:170:27 @[ standard.py:191:40 @[ log_softmax_aot.py:35:26 ] ]
	v_max_f32_e32 v35, v35, v35
	v_max_f32_e32 v34, v34, v35
.Ltmp100:
	.loc	2 191 40                        ; standard.py:191:40 @[ log_softmax_aot.py:35:26 ]
	s_nop 0
	v_readlane_b32 s40, v34, 63
	s_and_saveexec_b64 s[0:1], vcc
	s_cbranch_execnz .LBB0_214
; %bb.68:                               ; %.critedge
	.loc	2 0 40 is_stmt 0                ; standard.py:0:40
	s_or_b64 exec, exec, s[0:1]
	.loc	2 191 40                        ; standard.py:191:40 @[ log_softmax_aot.py:35:26 ]
	s_and_saveexec_b64 s[0:1], vcc
	s_cbranch_execnz .LBB0_215
.LBB0_69:                               ; %.critedge4
	.loc	2 0 40                          ; standard.py:0:40
	s_or_b64 exec, exec, s[0:1]
	.loc	2 191 40                        ; standard.py:191:40 @[ log_softmax_aot.py:35:26 ]
	s_and_saveexec_b64 s[0:1], vcc
	s_cbranch_execnz .LBB0_216
.LBB0_70:                               ; %.critedge8
	.loc	2 0 40                          ; standard.py:0:40
	s_or_b64 exec, exec, s[0:1]
	.loc	2 191 40                        ; standard.py:191:40 @[ log_softmax_aot.py:35:26 ]
	s_and_saveexec_b64 s[0:1], vcc
.LBB0_71:
	v_mov_b32_e32 v34, s6
	v_mov_b32_e32 v35, s39
	;; [unrolled: 1-line block ×3, first 2 shown]
	ds_write2_b32 v34, v35, v36 offset0:24 offset1:28
.LBB0_72:                               ; %.critedge12
	.loc	2 0 40                          ; standard.py:0:40
	s_or_b64 exec, exec, s[0:1]
	.loc	2 191 40                        ; standard.py:191:40 @[ log_softmax_aot.py:35:26 ]
	v_cmp_gt_u32_e64 s[0:1], 32, v0
	v_lshl_add_u32 v34, v0, 2, 0
.Ltmp101:
	.loc	1 35 26 is_stmt 1               ; log_softmax_aot.py:35:26
	v_mov_b32_e32 v35, 0
.Ltmp102:
	.loc	2 191 40                        ; standard.py:191:40 @[ log_softmax_aot.py:35:26 ]
	s_waitcnt lgkmcnt(0)
	s_barrier
	s_and_saveexec_b64 s[10:11], s[0:1]
; %bb.73:
	ds_read_b32 v35, v34
; %bb.74:
	.loc	2 0 40 is_stmt 0                ; standard.py:0:40
	s_or_b64 exec, exec, s[10:11]
.Ltmp103:
	.loc	2 170 27 is_stmt 1              ; standard.py:170:27 @[ standard.py:191:40 @[ log_softmax_aot.py:35:26 ] ]
	s_waitcnt lgkmcnt(0)
	v_max_f32_e32 v36, v35, v35
.Ltmp104:
	.loc	2 191 40                        ; standard.py:191:40 @[ log_softmax_aot.py:35:26 ]
	v_mov_b32_dpp v35, v35 quad_perm:[2,3,0,1] row_mask:0xf bank_mask:0xf
.Ltmp105:
	.loc	2 170 27                        ; standard.py:170:27 @[ standard.py:191:40 @[ log_softmax_aot.py:35:26 ] ]
	v_max_f32_e32 v35, v35, v35
	v_max_f32_e32 v35, v36, v35
.Ltmp106:
	.loc	2 191 40                        ; standard.py:191:40 @[ log_softmax_aot.py:35:26 ]
	v_and_b32_e32 v0, 3, v0
	v_mov_b32_e32 v36, v35
	v_cmp_eq_u32_e64 s[10:11], 0, v0
	s_and_b64 s[36:37], s[0:1], s[10:11]
	v_mov_b32_dpp v36, v36 quad_perm:[1,0,3,2] row_mask:0xf bank_mask:0xf
	s_and_saveexec_b64 s[10:11], s[36:37]
; %bb.75:
	.loc	2 0 40 is_stmt 0                ; standard.py:0:40
	v_max_f32_e32 v0, v36, v36
	v_max_f32_e32 v35, v35, v35
	;; [unrolled: 1-line block ×3, first 2 shown]
	.loc	2 191 40                        ; standard.py:191:40 @[ log_softmax_aot.py:35:26 ]
	ds_write_b32 v34, v0
; %bb.76:
	.loc	2 0 40                          ; standard.py:0:40
	s_or_b64 exec, exec, s[10:11]
	.loc	2 191 40                        ; standard.py:191:40 @[ log_softmax_aot.py:35:26 ]
	v_mov_b32_e32 v0, 0
	s_waitcnt lgkmcnt(0)
	s_barrier
	ds_read_b32 v64, v0
	ds_read_b32 v65, v0 offset:16
	ds_read_b32 v66, v0 offset:32
	ds_read_b32 v67, v0 offset:48
	ds_read_b32 v68, v0 offset:64
	ds_read_b32 v69, v0 offset:80
	ds_read_b32 v70, v0 offset:96
	ds_read_b32 v71, v0 offset:112
.Ltmp107:
	.loc	1 36 30 is_stmt 1               ; log_softmax_aot.py:36:30
	s_waitcnt lgkmcnt(7)
	v_sub_f32_e32 v0, v108, v64
	v_sub_f32_e32 v35, v109, v64
	.loc	1 36 26 is_stmt 0               ; log_softmax_aot.py:36:26
	v_mul_f32_e32 v75, 0x3fb8aa3b, v0
	s_mov_b32 s38, 0xc2fc0000
	v_mov_b32_e32 v76, 0x42800000
	v_cmp_gt_f32_e64 s[10:11], s38, v75
	v_mul_f32_e32 v77, 0x3fb8aa3b, v35
	v_cmp_gt_f32_e64 s[12:13], s38, v77
	v_cndmask_b32_e64 v75, 0, v76, s[10:11]
	v_fmac_f32_e32 v75, 0x3fb8aa3b, v0
	v_cndmask_b32_e64 v77, 0, v76, s[12:13]
	v_exp_f32_e32 v0, v75
	v_fmac_f32_e32 v77, 0x3fb8aa3b, v35
	v_exp_f32_e32 v35, v77
	v_not_b32_e32 v75, 63
	v_cndmask_b32_e64 v77, 0, v75, s[10:11]
	.loc	1 36 30                         ; log_softmax_aot.py:36:30
	v_sub_f32_e32 v36, v110, v64
	.loc	1 36 26                         ; log_softmax_aot.py:36:26
	v_ldexp_f32 v0, v0, v77
	v_cndmask_b32_e64 v77, 0, v75, s[12:13]
	v_ldexp_f32 v35, v35, v77
	v_mul_f32_e32 v77, 0x3fb8aa3b, v36
	v_cmp_gt_f32_e64 s[10:11], s38, v77
	.loc	1 36 30                         ; log_softmax_aot.py:36:30
	v_sub_f32_e32 v37, v111, v64
	s_waitcnt lgkmcnt(6)
	v_sub_f32_e32 v38, v112, v65
	.loc	1 36 26                         ; log_softmax_aot.py:36:26
	v_cndmask_b32_e64 v77, 0, v76, s[10:11]
	v_fmac_f32_e32 v77, 0x3fb8aa3b, v36
	v_exp_f32_e32 v36, v77
	v_mul_f32_e32 v77, 0x3fb8aa3b, v37
	v_cmp_gt_f32_e64 s[12:13], s38, v77
	.loc	1 36 30                         ; log_softmax_aot.py:36:30
	v_sub_f32_e32 v39, v113, v65
	v_sub_f32_e32 v40, v114, v65
	.loc	1 36 26                         ; log_softmax_aot.py:36:26
	v_cndmask_b32_e64 v77, 0, v76, s[12:13]
	v_fmac_f32_e32 v77, 0x3fb8aa3b, v37
	v_exp_f32_e32 v37, v77
	v_cndmask_b32_e64 v77, 0, v75, s[10:11]
	v_ldexp_f32 v36, v36, v77
	v_cndmask_b32_e64 v77, 0, v75, s[12:13]
	v_ldexp_f32 v37, v37, v77
	v_mul_f32_e32 v77, 0x3fb8aa3b, v38
	v_cmp_gt_f32_e64 s[10:11], s38, v77
	.loc	1 36 30                         ; log_softmax_aot.py:36:30
	v_sub_f32_e32 v41, v115, v65
	s_waitcnt lgkmcnt(5)
	v_sub_f32_e32 v42, v116, v66
	.loc	1 36 26                         ; log_softmax_aot.py:36:26
	v_cndmask_b32_e64 v77, 0, v76, s[10:11]
	v_fmac_f32_e32 v77, 0x3fb8aa3b, v38
	v_exp_f32_e32 v38, v77
	v_mul_f32_e32 v77, 0x3fb8aa3b, v39
	v_cmp_gt_f32_e64 s[12:13], s38, v77
	.loc	1 36 30                         ; log_softmax_aot.py:36:30
	v_sub_f32_e32 v43, v117, v66
	v_sub_f32_e32 v44, v118, v66
	.loc	1 36 26                         ; log_softmax_aot.py:36:26
	v_cndmask_b32_e64 v77, 0, v76, s[12:13]
	v_fmac_f32_e32 v77, 0x3fb8aa3b, v39
	v_exp_f32_e32 v39, v77
	v_cndmask_b32_e64 v77, 0, v75, s[10:11]
	;; [unrolled: 23-line block ×7, first 2 shown]
	v_ldexp_f32 v48, v48, v77
	v_cndmask_b32_e64 v77, 0, v75, s[12:13]
	v_ldexp_f32 v49, v49, v77
	v_mul_f32_e32 v77, 0x3fb8aa3b, v50
	v_cmp_gt_f32_e64 s[10:11], s38, v77
	.loc	1 36 19                         ; log_softmax_aot.py:36:19
	v_mul_f32_e32 v33, v33, v35
	.loc	1 36 30                         ; log_softmax_aot.py:36:30
	v_sub_f32_e32 v74, v107, v71
	.loc	1 36 26                         ; log_softmax_aot.py:36:26
	v_cndmask_b32_e64 v77, 0, v76, s[10:11]
	v_fmac_f32_e32 v77, 0x3fb8aa3b, v50
	v_exp_f32_e32 v50, v77
	v_mul_f32_e32 v77, 0x3fb8aa3b, v51
	v_cmp_gt_f32_e64 s[12:13], s38, v77
.Ltmp108:
	.loc	2 263 15 is_stmt 1              ; standard.py:263:15 @[ standard.py:293:36 @[ log_softmax_aot.py:36:51 ] ]
	v_fmac_f32_e32 v33, v32, v0
	v_fmac_f32_e32 v33, v30, v36
.Ltmp109:
	.loc	1 36 26                         ; log_softmax_aot.py:36:26
	v_cndmask_b32_e64 v77, 0, v76, s[12:13]
	v_fmac_f32_e32 v77, 0x3fb8aa3b, v51
	v_exp_f32_e32 v51, v77
	v_cndmask_b32_e64 v77, 0, v75, s[10:11]
	v_ldexp_f32 v50, v50, v77
	v_cndmask_b32_e64 v77, 0, v75, s[12:13]
	v_ldexp_f32 v51, v51, v77
	v_mul_f32_e32 v77, 0x3fb8aa3b, v52
	v_cmp_gt_f32_e64 s[10:11], s38, v77
.Ltmp110:
	.loc	2 263 15                        ; standard.py:263:15 @[ standard.py:293:36 @[ log_softmax_aot.py:36:51 ] ]
	v_fmac_f32_e32 v33, v31, v37
.Ltmp111:
	.loc	1 36 19                         ; log_softmax_aot.py:36:19
	v_mul_f32_e32 v29, v29, v39
	.loc	1 36 26 is_stmt 0               ; log_softmax_aot.py:36:26
	v_cndmask_b32_e64 v77, 0, v76, s[10:11]
	v_fmac_f32_e32 v77, 0x3fb8aa3b, v52
	v_exp_f32_e32 v52, v77
	v_mul_f32_e32 v77, 0x3fb8aa3b, v53
	v_cmp_gt_f32_e64 s[12:13], s38, v77
.Ltmp112:
	.loc	2 263 15 is_stmt 1              ; standard.py:263:15 @[ standard.py:293:36 @[ log_softmax_aot.py:36:51 ] ]
	v_add_f32_dpp v0, v33, v33 row_shr:8 row_mask:0xf bank_mask:0xf bound_ctrl:1
	v_fmac_f32_e32 v29, v28, v38
.Ltmp113:
	.loc	1 36 26                         ; log_softmax_aot.py:36:26
	v_cndmask_b32_e64 v77, 0, v76, s[12:13]
	v_fmac_f32_e32 v77, 0x3fb8aa3b, v53
	v_exp_f32_e32 v53, v77
	v_cndmask_b32_e64 v77, 0, v75, s[10:11]
	v_ldexp_f32 v52, v52, v77
	v_cndmask_b32_e64 v77, 0, v75, s[12:13]
	v_ldexp_f32 v53, v53, v77
	v_mul_f32_e32 v77, 0x3fb8aa3b, v54
	v_cmp_gt_f32_e64 s[10:11], s38, v77
.Ltmp114:
	.loc	2 263 15                        ; standard.py:263:15 @[ standard.py:293:36 @[ log_softmax_aot.py:36:51 ] ]
	v_add_f32_dpp v0, v0, v0 row_shr:4 row_mask:0xf bank_mask:0xf bound_ctrl:1
	v_fmac_f32_e32 v29, v26, v40
.Ltmp115:
	.loc	1 36 26                         ; log_softmax_aot.py:36:26
	v_cndmask_b32_e64 v77, 0, v76, s[10:11]
	v_fmac_f32_e32 v77, 0x3fb8aa3b, v54
	v_exp_f32_e32 v54, v77
	v_mul_f32_e32 v77, 0x3fb8aa3b, v55
	v_cmp_gt_f32_e64 s[12:13], s38, v77
.Ltmp116:
	.loc	2 263 15                        ; standard.py:263:15 @[ standard.py:293:36 @[ log_softmax_aot.py:36:51 ] ]
	v_add_f32_dpp v0, v0, v0 row_shr:2 row_mask:0xf bank_mask:0xf bound_ctrl:1
	v_fmac_f32_e32 v29, v27, v41
.Ltmp117:
	.loc	1 36 26                         ; log_softmax_aot.py:36:26
	v_cndmask_b32_e64 v77, 0, v76, s[12:13]
	v_fmac_f32_e32 v77, 0x3fb8aa3b, v55
	v_exp_f32_e32 v55, v77
	v_cndmask_b32_e64 v77, 0, v75, s[10:11]
	v_ldexp_f32 v54, v54, v77
	v_cndmask_b32_e64 v77, 0, v75, s[12:13]
	v_ldexp_f32 v55, v55, v77
	v_mul_f32_e32 v77, 0x3fb8aa3b, v56
	v_cmp_gt_f32_e64 s[10:11], s38, v77
.Ltmp118:
	.loc	2 263 15                        ; standard.py:263:15 @[ standard.py:293:36 @[ log_softmax_aot.py:36:51 ] ]
	v_add_f32_dpp v0, v0, v0 row_shr:1 row_mask:0xf bank_mask:0xf bound_ctrl:1
.Ltmp119:
	.loc	1 36 19                         ; log_softmax_aot.py:36:19
	v_mul_f32_e32 v25, v25, v43
	.loc	1 36 26 is_stmt 0               ; log_softmax_aot.py:36:26
	v_cndmask_b32_e64 v77, 0, v76, s[10:11]
	v_fmac_f32_e32 v77, 0x3fb8aa3b, v56
	v_exp_f32_e32 v56, v77
	v_mul_f32_e32 v77, 0x3fb8aa3b, v57
	v_cmp_gt_f32_e64 s[12:13], s38, v77
.Ltmp120:
	.loc	2 263 15 is_stmt 1              ; standard.py:263:15 @[ standard.py:293:36 @[ log_softmax_aot.py:36:51 ] ]
	v_fmac_f32_e32 v25, v24, v42
	v_fmac_f32_e32 v25, v22, v44
.Ltmp121:
	.loc	1 36 26                         ; log_softmax_aot.py:36:26
	v_cndmask_b32_e64 v77, 0, v76, s[12:13]
	v_fmac_f32_e32 v77, 0x3fb8aa3b, v57
	v_exp_f32_e32 v57, v77
	v_cndmask_b32_e64 v77, 0, v75, s[10:11]
	v_ldexp_f32 v56, v56, v77
	v_cndmask_b32_e64 v77, 0, v75, s[12:13]
	v_ldexp_f32 v57, v57, v77
	v_mul_f32_e32 v77, 0x3fb8aa3b, v58
	v_cmp_gt_f32_e64 s[10:11], s38, v77
.Ltmp122:
	.loc	2 263 15                        ; standard.py:263:15 @[ standard.py:293:36 @[ log_softmax_aot.py:36:51 ] ]
	v_fmac_f32_e32 v25, v23, v45
.Ltmp123:
	.loc	1 36 19                         ; log_softmax_aot.py:36:19
	v_mul_f32_e32 v21, v21, v47
	.loc	1 36 26 is_stmt 0               ; log_softmax_aot.py:36:26
	v_cndmask_b32_e64 v77, 0, v76, s[10:11]
	v_fmac_f32_e32 v77, 0x3fb8aa3b, v58
	v_exp_f32_e32 v58, v77
	v_mul_f32_e32 v77, 0x3fb8aa3b, v59
	v_cmp_gt_f32_e64 s[12:13], s38, v77
.Ltmp124:
	.loc	2 263 15 is_stmt 1              ; standard.py:263:15 @[ standard.py:293:36 @[ log_softmax_aot.py:36:51 ] ]
	v_fmac_f32_e32 v21, v20, v46
	v_fmac_f32_e32 v21, v18, v48
.Ltmp125:
	.loc	1 36 26                         ; log_softmax_aot.py:36:26
	v_cndmask_b32_e64 v77, 0, v76, s[12:13]
	v_fmac_f32_e32 v77, 0x3fb8aa3b, v59
	v_exp_f32_e32 v59, v77
	v_cndmask_b32_e64 v77, 0, v75, s[10:11]
	v_ldexp_f32 v58, v58, v77
	v_cndmask_b32_e64 v77, 0, v75, s[12:13]
	v_ldexp_f32 v59, v59, v77
	v_mul_f32_e32 v77, 0x3fb8aa3b, v60
	v_cmp_gt_f32_e64 s[10:11], s38, v77
.Ltmp126:
	.loc	2 263 15                        ; standard.py:263:15 @[ standard.py:293:36 @[ log_softmax_aot.py:36:51 ] ]
	v_fmac_f32_e32 v21, v19, v49
.Ltmp127:
	.loc	1 36 19                         ; log_softmax_aot.py:36:19
	v_mul_f32_e32 v17, v17, v51
	.loc	1 36 26 is_stmt 0               ; log_softmax_aot.py:36:26
	v_cndmask_b32_e64 v77, 0, v76, s[10:11]
	v_fmac_f32_e32 v77, 0x3fb8aa3b, v60
	v_exp_f32_e32 v60, v77
	v_mul_f32_e32 v77, 0x3fb8aa3b, v61
	v_cmp_gt_f32_e64 s[12:13], s38, v77
.Ltmp128:
	.loc	2 263 15 is_stmt 1              ; standard.py:263:15 @[ standard.py:293:36 @[ log_softmax_aot.py:36:51 ] ]
	v_fmac_f32_e32 v17, v16, v50
	v_fmac_f32_e32 v17, v14, v52
.Ltmp129:
	.loc	1 36 26                         ; log_softmax_aot.py:36:26
	v_cndmask_b32_e64 v77, 0, v76, s[12:13]
	v_fmac_f32_e32 v77, 0x3fb8aa3b, v61
	v_exp_f32_e32 v61, v77
	v_cndmask_b32_e64 v77, 0, v75, s[10:11]
	v_ldexp_f32 v60, v60, v77
	v_cndmask_b32_e64 v77, 0, v75, s[12:13]
	v_ldexp_f32 v61, v61, v77
	v_mul_f32_e32 v77, 0x3fb8aa3b, v62
	v_cmp_gt_f32_e64 s[10:11], s38, v77
.Ltmp130:
	.loc	2 263 15                        ; standard.py:263:15 @[ standard.py:293:36 @[ log_softmax_aot.py:36:51 ] ]
	v_fmac_f32_e32 v17, v15, v53
.Ltmp131:
	.loc	1 36 19                         ; log_softmax_aot.py:36:19
	v_mul_f32_e32 v13, v13, v55
	.loc	1 36 26 is_stmt 0               ; log_softmax_aot.py:36:26
	v_cndmask_b32_e64 v77, 0, v76, s[10:11]
	v_fmac_f32_e32 v77, 0x3fb8aa3b, v62
	v_exp_f32_e32 v62, v77
	v_mul_f32_e32 v77, 0x3fb8aa3b, v63
	v_cmp_gt_f32_e64 s[12:13], s38, v77
.Ltmp132:
	.loc	2 263 15 is_stmt 1              ; standard.py:263:15 @[ standard.py:293:36 @[ log_softmax_aot.py:36:51 ] ]
	v_fmac_f32_e32 v13, v12, v54
	v_fmac_f32_e32 v13, v10, v56
.Ltmp133:
	.loc	1 36 26                         ; log_softmax_aot.py:36:26
	v_cndmask_b32_e64 v77, 0, v76, s[12:13]
	v_fmac_f32_e32 v77, 0x3fb8aa3b, v63
	v_exp_f32_e32 v63, v77
	v_cndmask_b32_e64 v77, 0, v75, s[10:11]
	v_ldexp_f32 v62, v62, v77
	v_cndmask_b32_e64 v77, 0, v75, s[12:13]
	v_ldexp_f32 v63, v63, v77
	v_mul_f32_e32 v77, 0x3fb8aa3b, v73
	v_cmp_gt_f32_e64 s[10:11], s38, v77
	.loc	1 36 19 is_stmt 0               ; log_softmax_aot.py:36:19
	v_mul_f32_e32 v5, v5, v63
.Ltmp134:
	.loc	2 263 15 is_stmt 1              ; standard.py:263:15 @[ standard.py:293:36 @[ log_softmax_aot.py:36:51 ] ]
	v_fmac_f32_e32 v5, v4, v62
.Ltmp135:
	.loc	1 36 26                         ; log_softmax_aot.py:36:26
	v_cndmask_b32_e64 v77, 0, v76, s[10:11]
	v_fmac_f32_e32 v77, 0x3fb8aa3b, v73
	v_exp_f32_e32 v73, v77
	v_mul_f32_e32 v77, 0x3fb8aa3b, v74
	v_cmp_gt_f32_e64 s[12:13], s38, v77
.Ltmp136:
	.loc	2 263 15                        ; standard.py:263:15 @[ standard.py:293:36 @[ log_softmax_aot.py:36:51 ] ]
	v_fmac_f32_e32 v13, v11, v57
.Ltmp137:
	.loc	1 36 19                         ; log_softmax_aot.py:36:19
	v_mul_f32_e32 v9, v9, v59
	.loc	1 36 26 is_stmt 0               ; log_softmax_aot.py:36:26
	v_cndmask_b32_e64 v76, 0, v76, s[12:13]
	v_fmac_f32_e32 v76, 0x3fb8aa3b, v74
	v_exp_f32_e32 v74, v76
	v_cndmask_b32_e64 v76, 0, v75, s[10:11]
	v_ldexp_f32 v73, v73, v76
.Ltmp138:
	.loc	2 263 15 is_stmt 1              ; standard.py:263:15 @[ standard.py:293:36 @[ log_softmax_aot.py:36:51 ] ]
	v_fmac_f32_e32 v5, v2, v73
.Ltmp139:
	.loc	2 293 36                        ; standard.py:293:36 @[ log_softmax_aot.py:36:51 ]
	v_mov_b32_e32 v2, v0
.Ltmp140:
	.loc	1 36 26                         ; log_softmax_aot.py:36:26
	v_cndmask_b32_e64 v75, 0, v75, s[12:13]
.Ltmp141:
	.loc	2 263 15                        ; standard.py:263:15 @[ standard.py:293:36 @[ log_softmax_aot.py:36:51 ] ]
	v_fmac_f32_e32 v9, v8, v58
.Ltmp142:
	.loc	2 293 36                        ; standard.py:293:36 @[ log_softmax_aot.py:36:51 ]
	v_mov_b32_dpp v2, v2 row_bcast:15 row_mask:0xa bank_mask:0xf bound_ctrl:1
.Ltmp143:
	.loc	2 263 15                        ; standard.py:263:15 @[ standard.py:293:36 @[ log_softmax_aot.py:36:51 ] ]
	v_add_f32_e32 v0, v0, v2
	v_fmac_f32_e32 v9, v6, v60
	v_fmac_f32_e32 v9, v7, v61
	v_add_f32_dpp v0, v0, v0 row_bcast:31 row_mask:0xf bank_mask:0xf bound_ctrl:1
.Ltmp144:
	.loc	1 36 26                         ; log_softmax_aot.py:36:26
	v_ldexp_f32 v74, v74, v75
.Ltmp145:
	.loc	2 293 36                        ; standard.py:293:36 @[ log_softmax_aot.py:36:51 ]
	v_readlane_b32 s12, v0, 63
.Ltmp146:
	.loc	2 263 15                        ; standard.py:263:15 @[ standard.py:293:36 @[ log_softmax_aot.py:36:51 ] ]
	v_add_f32_dpp v0, v29, v29 row_shr:8 row_mask:0xf bank_mask:0xf bound_ctrl:1
	v_fmac_f32_e32 v5, v3, v74
.Ltmp147:
	.loc	2 293 36                        ; standard.py:293:36 @[ log_softmax_aot.py:36:51 ]
	s_waitcnt lgkmcnt(0)
.Ltmp148:
	.loc	2 263 15                        ; standard.py:263:15 @[ standard.py:293:36 @[ log_softmax_aot.py:36:51 ] ]
	v_add_f32_dpp v0, v0, v0 row_shr:4 row_mask:0xf bank_mask:0xf bound_ctrl:1
.Ltmp149:
	.loc	2 293 36                        ; standard.py:293:36 @[ log_softmax_aot.py:36:51 ]
	s_barrier
.Ltmp150:
	.loc	2 263 15                        ; standard.py:263:15 @[ standard.py:293:36 @[ log_softmax_aot.py:36:51 ] ]
	s_nop 0
	v_add_f32_dpp v0, v0, v0 row_shr:2 row_mask:0xf bank_mask:0xf bound_ctrl:1
	s_nop 1
	v_add_f32_dpp v0, v0, v0 row_shr:1 row_mask:0xf bank_mask:0xf bound_ctrl:1
.Ltmp151:
	.loc	2 293 36                        ; standard.py:293:36 @[ log_softmax_aot.py:36:51 ]
	v_mov_b32_e32 v2, v0
	s_nop 1
	v_mov_b32_dpp v2, v2 row_bcast:15 row_mask:0xa bank_mask:0xf bound_ctrl:1
.Ltmp152:
	.loc	2 263 15                        ; standard.py:263:15 @[ standard.py:293:36 @[ log_softmax_aot.py:36:51 ] ]
	v_add_f32_e32 v0, v0, v2
	s_nop 1
	v_add_f32_dpp v0, v0, v0 row_bcast:31 row_mask:0xf bank_mask:0xf bound_ctrl:1
.Ltmp153:
	.loc	2 293 36                        ; standard.py:293:36 @[ log_softmax_aot.py:36:51 ]
	s_nop 0
	v_readlane_b32 s13, v0, 63
.Ltmp154:
	.loc	2 263 15                        ; standard.py:263:15 @[ standard.py:293:36 @[ log_softmax_aot.py:36:51 ] ]
	v_add_f32_dpp v0, v25, v25 row_shr:8 row_mask:0xf bank_mask:0xf bound_ctrl:1
	s_nop 1
	v_add_f32_dpp v0, v0, v0 row_shr:4 row_mask:0xf bank_mask:0xf bound_ctrl:1
	s_nop 1
	;; [unrolled: 2-line block ×3, first 2 shown]
	v_add_f32_dpp v0, v0, v0 row_shr:1 row_mask:0xf bank_mask:0xf bound_ctrl:1
.Ltmp155:
	.loc	2 293 36                        ; standard.py:293:36 @[ log_softmax_aot.py:36:51 ]
	v_mov_b32_e32 v2, v0
	s_nop 1
	v_mov_b32_dpp v2, v2 row_bcast:15 row_mask:0xa bank_mask:0xf bound_ctrl:1
.Ltmp156:
	.loc	2 263 15                        ; standard.py:263:15 @[ standard.py:293:36 @[ log_softmax_aot.py:36:51 ] ]
	v_add_f32_e32 v0, v0, v2
	s_nop 1
	v_add_f32_dpp v0, v0, v0 row_bcast:31 row_mask:0xf bank_mask:0xf bound_ctrl:1
.Ltmp157:
	.loc	2 293 36                        ; standard.py:293:36 @[ log_softmax_aot.py:36:51 ]
	s_nop 0
	v_readlane_b32 s38, v0, 63
.Ltmp158:
	.loc	2 263 15                        ; standard.py:263:15 @[ standard.py:293:36 @[ log_softmax_aot.py:36:51 ] ]
	v_add_f32_dpp v0, v21, v21 row_shr:8 row_mask:0xf bank_mask:0xf bound_ctrl:1
	s_nop 1
	v_add_f32_dpp v0, v0, v0 row_shr:4 row_mask:0xf bank_mask:0xf bound_ctrl:1
	s_nop 1
	;; [unrolled: 2-line block ×3, first 2 shown]
	v_add_f32_dpp v0, v0, v0 row_shr:1 row_mask:0xf bank_mask:0xf bound_ctrl:1
.Ltmp159:
	.loc	2 293 36                        ; standard.py:293:36 @[ log_softmax_aot.py:36:51 ]
	v_mov_b32_e32 v2, v0
	s_nop 1
	v_mov_b32_dpp v2, v2 row_bcast:15 row_mask:0xa bank_mask:0xf bound_ctrl:1
.Ltmp160:
	.loc	2 263 15                        ; standard.py:263:15 @[ standard.py:293:36 @[ log_softmax_aot.py:36:51 ] ]
	v_add_f32_e32 v0, v0, v2
	s_nop 1
	v_add_f32_dpp v0, v0, v0 row_bcast:31 row_mask:0xf bank_mask:0xf bound_ctrl:1
.Ltmp161:
	.loc	2 293 36                        ; standard.py:293:36 @[ log_softmax_aot.py:36:51 ]
	s_nop 0
	v_readlane_b32 s39, v0, 63
.Ltmp162:
	.loc	2 263 15                        ; standard.py:263:15 @[ standard.py:293:36 @[ log_softmax_aot.py:36:51 ] ]
	v_add_f32_dpp v0, v17, v17 row_shr:8 row_mask:0xf bank_mask:0xf bound_ctrl:1
	s_nop 1
	v_add_f32_dpp v0, v0, v0 row_shr:4 row_mask:0xf bank_mask:0xf bound_ctrl:1
	s_nop 1
	;; [unrolled: 2-line block ×3, first 2 shown]
	v_add_f32_dpp v0, v0, v0 row_shr:1 row_mask:0xf bank_mask:0xf bound_ctrl:1
.Ltmp163:
	.loc	2 293 36                        ; standard.py:293:36 @[ log_softmax_aot.py:36:51 ]
	v_mov_b32_e32 v2, v0
	s_nop 1
	v_mov_b32_dpp v2, v2 row_bcast:15 row_mask:0xa bank_mask:0xf bound_ctrl:1
.Ltmp164:
	.loc	2 263 15                        ; standard.py:263:15 @[ standard.py:293:36 @[ log_softmax_aot.py:36:51 ] ]
	v_add_f32_e32 v0, v0, v2
	s_nop 1
	v_add_f32_dpp v0, v0, v0 row_bcast:31 row_mask:0xf bank_mask:0xf bound_ctrl:1
.Ltmp165:
	.loc	2 293 36                        ; standard.py:293:36 @[ log_softmax_aot.py:36:51 ]
	s_nop 0
	v_readlane_b32 s40, v0, 63
.Ltmp166:
	.loc	2 263 15                        ; standard.py:263:15 @[ standard.py:293:36 @[ log_softmax_aot.py:36:51 ] ]
	v_add_f32_dpp v0, v13, v13 row_shr:8 row_mask:0xf bank_mask:0xf bound_ctrl:1
	s_nop 1
	v_add_f32_dpp v0, v0, v0 row_shr:4 row_mask:0xf bank_mask:0xf bound_ctrl:1
	s_nop 1
	;; [unrolled: 2-line block ×3, first 2 shown]
	v_add_f32_dpp v0, v0, v0 row_shr:1 row_mask:0xf bank_mask:0xf bound_ctrl:1
.Ltmp167:
	.loc	2 293 36                        ; standard.py:293:36 @[ log_softmax_aot.py:36:51 ]
	v_mov_b32_e32 v2, v0
	s_nop 1
	v_mov_b32_dpp v2, v2 row_bcast:15 row_mask:0xa bank_mask:0xf bound_ctrl:1
.Ltmp168:
	.loc	2 263 15                        ; standard.py:263:15 @[ standard.py:293:36 @[ log_softmax_aot.py:36:51 ] ]
	v_add_f32_e32 v0, v0, v2
	s_nop 1
	v_add_f32_dpp v0, v0, v0 row_bcast:31 row_mask:0xf bank_mask:0xf bound_ctrl:1
.Ltmp169:
	.loc	2 293 36                        ; standard.py:293:36 @[ log_softmax_aot.py:36:51 ]
	s_nop 0
	v_readlane_b32 s41, v0, 63
.Ltmp170:
	.loc	2 263 15                        ; standard.py:263:15 @[ standard.py:293:36 @[ log_softmax_aot.py:36:51 ] ]
	v_add_f32_dpp v0, v9, v9 row_shr:8 row_mask:0xf bank_mask:0xf bound_ctrl:1
	s_nop 1
	v_add_f32_dpp v0, v0, v0 row_shr:4 row_mask:0xf bank_mask:0xf bound_ctrl:1
	s_nop 1
	;; [unrolled: 2-line block ×3, first 2 shown]
	v_add_f32_dpp v0, v0, v0 row_shr:1 row_mask:0xf bank_mask:0xf bound_ctrl:1
.Ltmp171:
	.loc	2 293 36                        ; standard.py:293:36 @[ log_softmax_aot.py:36:51 ]
	v_mov_b32_e32 v2, v0
	s_nop 1
	v_mov_b32_dpp v2, v2 row_bcast:15 row_mask:0xa bank_mask:0xf bound_ctrl:1
.Ltmp172:
	.loc	2 263 15                        ; standard.py:263:15 @[ standard.py:293:36 @[ log_softmax_aot.py:36:51 ] ]
	v_add_f32_e32 v0, v0, v2
	s_nop 1
	v_add_f32_dpp v0, v0, v0 row_bcast:31 row_mask:0xf bank_mask:0xf bound_ctrl:1
.Ltmp173:
	.loc	2 293 36                        ; standard.py:293:36 @[ log_softmax_aot.py:36:51 ]
	s_nop 0
	v_readlane_b32 s42, v0, 63
.Ltmp174:
	.loc	2 263 15                        ; standard.py:263:15 @[ standard.py:293:36 @[ log_softmax_aot.py:36:51 ] ]
	v_add_f32_dpp v0, v5, v5 row_shr:8 row_mask:0xf bank_mask:0xf bound_ctrl:1
	s_nop 1
	v_add_f32_dpp v0, v0, v0 row_shr:4 row_mask:0xf bank_mask:0xf bound_ctrl:1
	s_nop 1
	;; [unrolled: 2-line block ×3, first 2 shown]
	v_add_f32_dpp v0, v0, v0 row_shr:1 row_mask:0xf bank_mask:0xf bound_ctrl:1
.Ltmp175:
	.loc	2 293 36                        ; standard.py:293:36 @[ log_softmax_aot.py:36:51 ]
	v_mov_b32_e32 v2, v0
	s_nop 1
	v_mov_b32_dpp v2, v2 row_bcast:15 row_mask:0xa bank_mask:0xf bound_ctrl:1
.Ltmp176:
	.loc	2 263 15                        ; standard.py:263:15 @[ standard.py:293:36 @[ log_softmax_aot.py:36:51 ] ]
	v_add_f32_e32 v0, v0, v2
	s_nop 1
	v_add_f32_dpp v0, v0, v0 row_bcast:31 row_mask:0xf bank_mask:0xf bound_ctrl:1
.Ltmp177:
	.loc	2 293 36                        ; standard.py:293:36 @[ log_softmax_aot.py:36:51 ]
	s_nop 0
	v_readlane_b32 s43, v0, 63
	s_and_saveexec_b64 s[10:11], vcc
	s_cbranch_execz .LBB0_78
; %bb.77:                               ; %.critedge14
	v_mov_b32_e32 v0, s6
	v_mov_b32_e32 v2, s12
	;; [unrolled: 1-line block ×3, first 2 shown]
	ds_write2_b32 v0, v2, v3 offset1:4
	v_mov_b32_e32 v2, s38
	v_mov_b32_e32 v3, s39
	ds_write2_b32 v0, v2, v3 offset0:8 offset1:12
	v_mov_b32_e32 v2, s40
	v_mov_b32_e32 v3, s41
	ds_write2_b32 v0, v2, v3 offset0:16 offset1:20
	;; [unrolled: 3-line block ×3, first 2 shown]
.Ltmp178:
.LBB0_78:                               ; %.critedge26
	.loc	2 0 36 is_stmt 0                ; standard.py:0:36
	s_or_b64 exec, exec, s[10:11]
	.loc	1 36 51 is_stmt 1               ; log_softmax_aot.py:36:51
	v_mov_b32_e32 v0, 0
.Ltmp179:
	.loc	2 293 36                        ; standard.py:293:36 @[ log_softmax_aot.py:36:51 ]
	s_waitcnt lgkmcnt(0)
	s_barrier
	s_and_saveexec_b64 s[10:11], s[0:1]
; %bb.79:
	ds_read_b32 v0, v34
; %bb.80:
	.loc	2 0 36 is_stmt 0                ; standard.py:0:36
	s_or_b64 exec, exec, s[10:11]
	.loc	2 293 36                        ; standard.py:293:36 @[ log_softmax_aot.py:36:51 ]
	s_waitcnt lgkmcnt(0)
	v_mov_b32_e32 v2, v0
	s_nop 1
	v_mov_b32_dpp v2, v2 quad_perm:[2,3,0,1] row_mask:0xf bank_mask:0xf
.Ltmp180:
	.loc	2 263 15 is_stmt 1              ; standard.py:263:15 @[ standard.py:293:36 @[ log_softmax_aot.py:36:51 ] ]
	v_add_f32_e32 v0, v0, v2
.Ltmp181:
	.loc	2 293 36                        ; standard.py:293:36 @[ log_softmax_aot.py:36:51 ]
	v_mov_b32_e32 v2, v0
	s_nop 1
	v_mov_b32_dpp v2, v2 quad_perm:[1,0,3,2] row_mask:0xf bank_mask:0xf
	s_and_saveexec_b64 s[0:1], s[36:37]
; %bb.81:
	.loc	2 0 36 is_stmt 0                ; standard.py:0:36
	v_add_f32_e32 v0, v0, v2
	.loc	2 293 36                        ; standard.py:293:36 @[ log_softmax_aot.py:36:51 ]
	ds_write_b32 v34, v0
.Ltmp182:
; %bb.82:
	.loc	2 0 36                          ; standard.py:0:36
	s_or_b64 exec, exec, s[0:1]
	.loc	1 39 31 is_stmt 1               ; log_softmax_aot.py:39:31
	s_andn2_b64 vcc, exec, s[34:35]
.Ltmp183:
	.loc	2 293 36                        ; standard.py:293:36 @[ log_softmax_aot.py:36:51 ]
	s_waitcnt lgkmcnt(0)
	s_barrier
.Ltmp184:
	.loc	1 39 31                         ; log_softmax_aot.py:39:31
	s_cbranch_vccnz .LBB0_213
; %bb.83:                               ; %.lr.ph32
.Ltmp185:
	.loc	2 293 36                        ; standard.py:293:36 @[ log_softmax_aot.py:36:51 ]
	v_mov_b32_e32 v0, 0
	s_mov_b32 s10, 0x800000
	ds_read_b32 v2, v0
	ds_read_b32 v3, v0 offset:16
	ds_read_b32 v4, v0 offset:32
	;; [unrolled: 1-line block ×7, first 2 shown]
.Ltmp186:
	.loc	1 45 38                         ; log_softmax_aot.py:45:38
	s_waitcnt lgkmcnt(7)
	v_cmp_gt_f32_e32 vcc, s10, v2
	s_and_b64 s[0:1], vcc, exec
	s_cselect_b32 s0, 32, 0
	v_ldexp_f32 v2, v2, s0
	v_mov_b32_e32 v9, 0x41b17218
	v_log_f32_e32 v2, v2
	v_cndmask_b32_e32 v10, 0, v9, vcc
	s_waitcnt lgkmcnt(6)
	v_cmp_gt_f32_e32 vcc, s10, v3
	s_and_b64 s[0:1], vcc, exec
	s_cselect_b32 s0, 32, 0
	s_mov_b32 s11, 0x3f317217
	v_mul_f32_e32 v11, 0x3f317217, v2
	v_ldexp_f32 v3, v3, s0
	v_fma_f32 v11, v2, s11, -v11
	v_log_f32_e32 v3, v3
	v_fmac_f32_e32 v11, 0x3377d1cf, v2
	s_mov_b32 s12, 0x7f800000
	v_fmac_f32_e32 v11, 0x3f317217, v2
	v_cndmask_b32_e32 v12, 0, v9, vcc
	v_cmp_lt_f32_e64 vcc, |v2|, s12
.Ltmp187:
	.loc	2 293 36                        ; standard.py:293:36 @[ log_softmax_aot.py:36:51 ]
	s_mov_b32 s6, 0
.Ltmp188:
	.loc	1 45 38                         ; log_softmax_aot.py:45:38
	s_nop 0
	v_cndmask_b32_e32 v2, v2, v11, vcc
	s_waitcnt lgkmcnt(5)
	v_cmp_gt_f32_e32 vcc, s10, v4
	v_sub_f32_e32 v73, v2, v10
	v_mul_f32_e32 v2, 0x3f317217, v3
	s_and_b64 s[0:1], vcc, exec
	v_fma_f32 v2, v3, s11, -v2
	s_cselect_b32 s0, 32, 0
	v_fmac_f32_e32 v2, 0x3377d1cf, v3
	v_ldexp_f32 v4, v4, s0
	v_fmac_f32_e32 v2, 0x3f317217, v3
	v_cndmask_b32_e32 v10, 0, v9, vcc
	v_log_f32_e32 v4, v4
	v_cmp_lt_f32_e64 vcc, |v3|, s12
	s_nop 1
	v_cndmask_b32_e32 v2, v3, v2, vcc
	s_waitcnt lgkmcnt(4)
	v_cmp_gt_f32_e32 vcc, s10, v5
	s_and_b64 s[0:1], vcc, exec
	s_cselect_b32 s0, 32, 0
	v_sub_f32_e32 v74, v2, v12
	v_mul_f32_e32 v2, 0x3f317217, v4
	v_ldexp_f32 v5, v5, s0
	v_fma_f32 v2, v4, s11, -v2
	v_log_f32_e32 v5, v5
	v_fmac_f32_e32 v2, 0x3377d1cf, v4
	v_fmac_f32_e32 v2, 0x3f317217, v4
	v_cndmask_b32_e32 v3, 0, v9, vcc
	v_cmp_lt_f32_e64 vcc, |v4|, s12
	s_nop 1
	v_cndmask_b32_e32 v2, v4, v2, vcc
	s_waitcnt lgkmcnt(3)
	v_cmp_gt_f32_e32 vcc, s10, v6
	v_sub_f32_e32 v75, v2, v10
	v_mul_f32_e32 v2, 0x3f317217, v5
	s_and_b64 s[0:1], vcc, exec
	v_fma_f32 v2, v5, s11, -v2
	s_cselect_b32 s0, 32, 0
	v_fmac_f32_e32 v2, 0x3377d1cf, v5
	v_ldexp_f32 v6, v6, s0
	v_fmac_f32_e32 v2, 0x3f317217, v5
	v_cndmask_b32_e32 v4, 0, v9, vcc
	v_log_f32_e32 v6, v6
	v_cmp_lt_f32_e64 vcc, |v5|, s12
	s_nop 1
	v_cndmask_b32_e32 v2, v5, v2, vcc
	s_waitcnt lgkmcnt(2)
	v_cmp_gt_f32_e32 vcc, s10, v7
	s_and_b64 s[0:1], vcc, exec
	s_cselect_b32 s0, 32, 0
	v_sub_f32_e32 v76, v2, v3
	v_mul_f32_e32 v2, 0x3f317217, v6
	v_ldexp_f32 v5, v7, s0
	v_fma_f32 v2, v6, s11, -v2
	v_log_f32_e32 v5, v5
	v_fmac_f32_e32 v2, 0x3377d1cf, v6
	v_fmac_f32_e32 v2, 0x3f317217, v6
	v_cndmask_b32_e32 v3, 0, v9, vcc
	v_cmp_lt_f32_e64 vcc, |v6|, s12
	;; [unrolled: 30-line block ×3, first 2 shown]
	.loc	1 39 31                         ; log_softmax_aot.py:39:31
	s_add_i32 s0, s9, 7
	s_mul_i32 s0, s7, s0
	.loc	1 45 38                         ; log_softmax_aot.py:45:38
	v_cndmask_b32_e32 v2, v6, v2, vcc
	v_sub_f32_e32 v79, v2, v4
	v_mul_f32_e32 v2, 0x3f317217, v0
	v_fma_f32 v2, v0, s11, -v2
	v_fmac_f32_e32 v2, 0x3377d1cf, v0
	v_fmac_f32_e32 v2, 0x3f317217, v0
	v_cmp_lt_f32_e64 vcc, |v0|, s12
	.loc	1 39 31                         ; log_softmax_aot.py:39:31
	s_add_i32 s0, s0, s33
	s_lshl_b32 s92, s8, 10
	.loc	1 45 38                         ; log_softmax_aot.py:45:38
	v_cndmask_b32_e32 v0, v0, v2, vcc
	v_sub_f32_e32 v80, v0, v3
	.loc	1 39 31                         ; log_softmax_aot.py:39:31
	v_add_u32_e32 v0, s0, v1
	s_add_i32 s0, s9, 6
	s_mul_i32 s0, s7, s0
	v_add_u32_e32 v2, 0x300, v0
	s_add_i32 s0, s0, s33
	v_mul_lo_u32 v81, s8, v2
	v_add_u32_e32 v2, s0, v1
	s_add_i32 s0, s9, 5
	s_mul_i32 s0, s7, s0
	v_add_u32_e32 v3, 0x300, v2
	s_add_i32 s0, s0, s33
	v_mul_lo_u32 v82, s8, v3
	;; [unrolled: 6-line block ×4, first 2 shown]
	v_add_u32_e32 v5, s0, v1
	s_add_i32 s0, s9, 2
	s_mul_i32 s0, s7, s0
	v_add_u32_e32 v6, 0x300, v5
	s_add_i32 s0, s0, s33
	s_add_i32 s9, s9, 1
	v_mul_lo_u32 v85, s8, v6
	v_add_u32_e32 v6, s0, v1
	s_mul_i32 s0, s7, s9
	v_add_u32_e32 v7, 0x300, v6
	s_add_i32 s0, s0, s33
	v_mul_lo_u32 v86, s8, v7
	v_add_u32_e32 v7, s0, v1
	s_lshl3_add_u32 s0, s14, s33
	v_add_u32_e32 v8, 0x300, v7
	v_add_u32_e32 v1, s0, v1
	v_mul_lo_u32 v87, s8, v8
	v_add_u32_e32 v8, 0x300, v1
	v_mul_lo_u32 v88, s8, v8
	;; [unrolled: 2-line block ×18, first 2 shown]
	v_mul_lo_u32 v105, s8, v0
	v_mul_lo_u32 v106, s8, v2
	;; [unrolled: 1-line block ×8, first 2 shown]
	s_branch .LBB0_85
.LBB0_84:                               ;   in Loop: Header=BB0_85 Depth=1
	.loc	1 0 31 is_stmt 0                ; log_softmax_aot.py:0:31
	s_or_b64 exec, exec, s[0:1]
	.loc	1 39 31 is_stmt 1               ; log_softmax_aot.py:39:31
	s_addk_i32 s6, 0x400
	s_add_i32 s15, s15, s92
	s_cmp_lt_i32 s6, s7
	s_cbranch_scc0 .LBB0_213
.LBB0_85:                               ; =>This Inner Loop Header: Depth=1
	.loc	1 40 29                         ; log_softmax_aot.py:40:29
	v_add_u32_e32 v6, s6, v72
	.loc	1 42 61                         ; log_softmax_aot.py:42:61
	v_cmp_gt_i32_e32 vcc, s7, v6
	.loc	1 44 22                         ; log_softmax_aot.py:44:22
	s_waitcnt vmcnt(0)
	v_mov_b32_e32 v113, 0xff800000
	.loc	1 41 69                         ; log_softmax_aot.py:41:69
	v_add_u32_e32 v0, s15, v112
	.loc	1 42 41                         ; log_softmax_aot.py:42:41
	s_and_b64 s[12:13], s[16:17], vcc
	v_mov_b32_e32 v114, v113
	.loc	1 44 22                         ; log_softmax_aot.py:44:22
	s_and_saveexec_b64 s[0:1], s[12:13]
	s_cbranch_execz .LBB0_87
; %bb.86:                               ;   in Loop: Header=BB0_85 Depth=1
	.loc	1 0 22 is_stmt 0                ; log_softmax_aot.py:0:22
	v_ashrrev_i32_e32 v1, 31, v0
	v_lshl_add_u64 v[2:3], v[0:1], 2, s[4:5]
	.loc	1 44 22                         ; log_softmax_aot.py:44:22
	global_load_dword v114, v[2:3], off
.LBB0_87:                               ;   in Loop: Header=BB0_85 Depth=1
	.loc	1 0 22                          ; log_softmax_aot.py:0:22
	s_or_b64 exec, exec, s[0:1]
	.loc	1 40 29 is_stmt 1               ; log_softmax_aot.py:40:29
	v_add_u32_e32 v1, 0x100, v6
	.loc	1 41 69                         ; log_softmax_aot.py:41:69
	v_add_u32_e32 v2, s15, v104
	.loc	1 42 61                         ; log_softmax_aot.py:42:61
	v_cmp_gt_i32_e64 s[0:1], s7, v1
	.loc	1 42 41 is_stmt 0               ; log_softmax_aot.py:42:41
	s_and_b64 s[34:35], s[16:17], s[0:1]
	.loc	1 43 33 is_stmt 1               ; log_softmax_aot.py:43:33
	v_ashrrev_i32_e32 v3, 31, v2
	.loc	1 44 22                         ; log_softmax_aot.py:44:22
	s_and_saveexec_b64 s[8:9], s[34:35]
	s_cbranch_execz .LBB0_89
; %bb.88:                               ;   in Loop: Header=BB0_85 Depth=1
	.loc	1 43 33                         ; log_softmax_aot.py:43:33
	v_lshl_add_u64 v[4:5], v[2:3], 2, s[4:5]
	.loc	1 44 22                         ; log_softmax_aot.py:44:22
	global_load_dword v113, v[4:5], off
.LBB0_89:                               ;   in Loop: Header=BB0_85 Depth=1
	.loc	1 0 22 is_stmt 0                ; log_softmax_aot.py:0:22
	s_or_b64 exec, exec, s[8:9]
	.loc	1 40 29 is_stmt 1               ; log_softmax_aot.py:40:29
	v_add_u32_e32 v1, 0x200, v6
	.loc	1 41 69                         ; log_softmax_aot.py:41:69
	v_add_u32_e32 v4, s15, v96
	.loc	1 42 61                         ; log_softmax_aot.py:42:61
	v_cmp_gt_i32_e64 s[10:11], s7, v1
	.loc	1 44 22                         ; log_softmax_aot.py:44:22
	v_mov_b32_e32 v115, 0xff800000
	.loc	1 42 41                         ; log_softmax_aot.py:42:41
	s_and_b64 s[36:37], s[16:17], s[10:11]
	.loc	1 43 33                         ; log_softmax_aot.py:43:33
	v_ashrrev_i32_e32 v5, 31, v4
	v_mov_b32_e32 v116, v115
	.loc	1 44 22                         ; log_softmax_aot.py:44:22
	s_and_saveexec_b64 s[8:9], s[36:37]
	s_cbranch_execz .LBB0_91
; %bb.90:                               ;   in Loop: Header=BB0_85 Depth=1
	.loc	1 43 33                         ; log_softmax_aot.py:43:33
	v_lshl_add_u64 v[8:9], v[4:5], 2, s[4:5]
	.loc	1 44 22                         ; log_softmax_aot.py:44:22
	global_load_dword v116, v[8:9], off
.LBB0_91:                               ;   in Loop: Header=BB0_85 Depth=1
	.loc	1 0 22 is_stmt 0                ; log_softmax_aot.py:0:22
	s_or_b64 exec, exec, s[8:9]
	.loc	1 41 65 is_stmt 1               ; log_softmax_aot.py:41:65
	v_add_u32_e32 v1, 0x300, v6
	.loc	1 41 69 is_stmt 0               ; log_softmax_aot.py:41:69
	v_add_u32_e32 v6, s15, v88
	.loc	1 42 61 is_stmt 1               ; log_softmax_aot.py:42:61
	v_cmp_gt_i32_e64 s[8:9], s7, v1
	.loc	1 42 41 is_stmt 0               ; log_softmax_aot.py:42:41
	s_and_b64 s[38:39], s[16:17], s[8:9]
	.loc	1 43 33 is_stmt 1               ; log_softmax_aot.py:43:33
	v_ashrrev_i32_e32 v7, 31, v6
	.loc	1 44 22                         ; log_softmax_aot.py:44:22
	s_and_saveexec_b64 s[40:41], s[38:39]
	s_cbranch_execz .LBB0_93
; %bb.92:                               ;   in Loop: Header=BB0_85 Depth=1
	.loc	1 43 33                         ; log_softmax_aot.py:43:33
	v_lshl_add_u64 v[8:9], v[6:7], 2, s[4:5]
	.loc	1 44 22                         ; log_softmax_aot.py:44:22
	global_load_dword v115, v[8:9], off
.LBB0_93:                               ;   in Loop: Header=BB0_85 Depth=1
	.loc	1 0 22 is_stmt 0                ; log_softmax_aot.py:0:22
	s_or_b64 exec, exec, s[40:41]
	.loc	1 41 69 is_stmt 1               ; log_softmax_aot.py:41:69
	v_add_u32_e32 v8, s15, v111
	.loc	1 44 22                         ; log_softmax_aot.py:44:22
	v_mov_b32_e32 v117, 0xff800000
	.loc	1 42 41                         ; log_softmax_aot.py:42:41
	s_and_b64 s[40:41], s[18:19], vcc
	.loc	1 43 33                         ; log_softmax_aot.py:43:33
	v_ashrrev_i32_e32 v9, 31, v8
	v_mov_b32_e32 v118, v117
	.loc	1 44 22                         ; log_softmax_aot.py:44:22
	s_and_saveexec_b64 s[42:43], s[40:41]
	s_cbranch_execz .LBB0_95
; %bb.94:                               ;   in Loop: Header=BB0_85 Depth=1
	.loc	1 43 33                         ; log_softmax_aot.py:43:33
	v_lshl_add_u64 v[10:11], v[8:9], 2, s[4:5]
	.loc	1 44 22                         ; log_softmax_aot.py:44:22
	global_load_dword v118, v[10:11], off
.LBB0_95:                               ;   in Loop: Header=BB0_85 Depth=1
	.loc	1 0 22 is_stmt 0                ; log_softmax_aot.py:0:22
	s_or_b64 exec, exec, s[42:43]
	.loc	1 41 69 is_stmt 1               ; log_softmax_aot.py:41:69
	v_add_u32_e32 v10, s15, v103
	.loc	1 42 41                         ; log_softmax_aot.py:42:41
	s_and_b64 s[42:43], s[18:19], s[0:1]
	.loc	1 43 33                         ; log_softmax_aot.py:43:33
	v_ashrrev_i32_e32 v11, 31, v10
	.loc	1 44 22                         ; log_softmax_aot.py:44:22
	s_and_saveexec_b64 s[44:45], s[42:43]
	s_cbranch_execz .LBB0_97
; %bb.96:                               ;   in Loop: Header=BB0_85 Depth=1
	.loc	1 43 33                         ; log_softmax_aot.py:43:33
	v_lshl_add_u64 v[12:13], v[10:11], 2, s[4:5]
	.loc	1 44 22                         ; log_softmax_aot.py:44:22
	global_load_dword v117, v[12:13], off
.LBB0_97:                               ;   in Loop: Header=BB0_85 Depth=1
	.loc	1 0 22 is_stmt 0                ; log_softmax_aot.py:0:22
	s_or_b64 exec, exec, s[44:45]
	.loc	1 41 69 is_stmt 1               ; log_softmax_aot.py:41:69
	v_add_u32_e32 v12, s15, v95
	.loc	1 44 22                         ; log_softmax_aot.py:44:22
	v_mov_b32_e32 v119, 0xff800000
	.loc	1 42 41                         ; log_softmax_aot.py:42:41
	s_and_b64 s[44:45], s[18:19], s[10:11]
	.loc	1 43 33                         ; log_softmax_aot.py:43:33
	v_ashrrev_i32_e32 v13, 31, v12
	v_mov_b32_e32 v120, v119
	.loc	1 44 22                         ; log_softmax_aot.py:44:22
	s_and_saveexec_b64 s[46:47], s[44:45]
	s_cbranch_execz .LBB0_99
; %bb.98:                               ;   in Loop: Header=BB0_85 Depth=1
	.loc	1 43 33                         ; log_softmax_aot.py:43:33
	v_lshl_add_u64 v[14:15], v[12:13], 2, s[4:5]
	.loc	1 44 22                         ; log_softmax_aot.py:44:22
	global_load_dword v120, v[14:15], off
.LBB0_99:                               ;   in Loop: Header=BB0_85 Depth=1
	.loc	1 0 22 is_stmt 0                ; log_softmax_aot.py:0:22
	s_or_b64 exec, exec, s[46:47]
	.loc	1 41 69 is_stmt 1               ; log_softmax_aot.py:41:69
	v_add_u32_e32 v14, s15, v87
	.loc	1 42 41                         ; log_softmax_aot.py:42:41
	s_and_b64 s[46:47], s[18:19], s[8:9]
	.loc	1 43 33                         ; log_softmax_aot.py:43:33
	v_ashrrev_i32_e32 v15, 31, v14
	.loc	1 44 22                         ; log_softmax_aot.py:44:22
	s_and_saveexec_b64 s[48:49], s[46:47]
	s_cbranch_execz .LBB0_101
; %bb.100:                              ;   in Loop: Header=BB0_85 Depth=1
	.loc	1 43 33                         ; log_softmax_aot.py:43:33
	v_lshl_add_u64 v[16:17], v[14:15], 2, s[4:5]
	.loc	1 44 22                         ; log_softmax_aot.py:44:22
	global_load_dword v119, v[16:17], off
.LBB0_101:                              ;   in Loop: Header=BB0_85 Depth=1
	.loc	1 0 22 is_stmt 0                ; log_softmax_aot.py:0:22
	s_or_b64 exec, exec, s[48:49]
	.loc	1 41 69 is_stmt 1               ; log_softmax_aot.py:41:69
	v_add_u32_e32 v16, s15, v110
	.loc	1 44 22                         ; log_softmax_aot.py:44:22
	v_mov_b32_e32 v121, 0xff800000
	.loc	1 42 41                         ; log_softmax_aot.py:42:41
	s_and_b64 s[48:49], s[20:21], vcc
	.loc	1 43 33                         ; log_softmax_aot.py:43:33
	v_ashrrev_i32_e32 v17, 31, v16
	v_mov_b32_e32 v122, v121
	.loc	1 44 22                         ; log_softmax_aot.py:44:22
	s_and_saveexec_b64 s[50:51], s[48:49]
	s_cbranch_execz .LBB0_103
; %bb.102:                              ;   in Loop: Header=BB0_85 Depth=1
	.loc	1 43 33                         ; log_softmax_aot.py:43:33
	v_lshl_add_u64 v[18:19], v[16:17], 2, s[4:5]
	.loc	1 44 22                         ; log_softmax_aot.py:44:22
	global_load_dword v122, v[18:19], off
.LBB0_103:                              ;   in Loop: Header=BB0_85 Depth=1
	.loc	1 0 22 is_stmt 0                ; log_softmax_aot.py:0:22
	s_or_b64 exec, exec, s[50:51]
	.loc	1 41 69 is_stmt 1               ; log_softmax_aot.py:41:69
	v_add_u32_e32 v18, s15, v102
	.loc	1 42 41                         ; log_softmax_aot.py:42:41
	s_and_b64 s[50:51], s[20:21], s[0:1]
	.loc	1 43 33                         ; log_softmax_aot.py:43:33
	v_ashrrev_i32_e32 v19, 31, v18
	.loc	1 44 22                         ; log_softmax_aot.py:44:22
	s_and_saveexec_b64 s[52:53], s[50:51]
	s_cbranch_execz .LBB0_105
; %bb.104:                              ;   in Loop: Header=BB0_85 Depth=1
	.loc	1 43 33                         ; log_softmax_aot.py:43:33
	v_lshl_add_u64 v[20:21], v[18:19], 2, s[4:5]
	.loc	1 44 22                         ; log_softmax_aot.py:44:22
	global_load_dword v121, v[20:21], off
.LBB0_105:                              ;   in Loop: Header=BB0_85 Depth=1
	.loc	1 0 22 is_stmt 0                ; log_softmax_aot.py:0:22
	s_or_b64 exec, exec, s[52:53]
	.loc	1 41 69 is_stmt 1               ; log_softmax_aot.py:41:69
	v_add_u32_e32 v20, s15, v94
	.loc	1 44 22                         ; log_softmax_aot.py:44:22
	v_mov_b32_e32 v123, 0xff800000
	.loc	1 42 41                         ; log_softmax_aot.py:42:41
	s_and_b64 s[52:53], s[20:21], s[10:11]
	.loc	1 43 33                         ; log_softmax_aot.py:43:33
	v_ashrrev_i32_e32 v21, 31, v20
	v_mov_b32_e32 v124, v123
	.loc	1 44 22                         ; log_softmax_aot.py:44:22
	s_and_saveexec_b64 s[54:55], s[52:53]
	s_cbranch_execz .LBB0_107
; %bb.106:                              ;   in Loop: Header=BB0_85 Depth=1
	.loc	1 43 33                         ; log_softmax_aot.py:43:33
	v_lshl_add_u64 v[22:23], v[20:21], 2, s[4:5]
	.loc	1 44 22                         ; log_softmax_aot.py:44:22
	global_load_dword v124, v[22:23], off
.LBB0_107:                              ;   in Loop: Header=BB0_85 Depth=1
	.loc	1 0 22 is_stmt 0                ; log_softmax_aot.py:0:22
	s_or_b64 exec, exec, s[54:55]
	.loc	1 41 69 is_stmt 1               ; log_softmax_aot.py:41:69
	v_add_u32_e32 v22, s15, v86
	.loc	1 42 41                         ; log_softmax_aot.py:42:41
	s_and_b64 s[54:55], s[20:21], s[8:9]
	.loc	1 43 33                         ; log_softmax_aot.py:43:33
	v_ashrrev_i32_e32 v23, 31, v22
	.loc	1 44 22                         ; log_softmax_aot.py:44:22
	s_and_saveexec_b64 s[56:57], s[54:55]
	s_cbranch_execz .LBB0_109
; %bb.108:                              ;   in Loop: Header=BB0_85 Depth=1
	.loc	1 43 33                         ; log_softmax_aot.py:43:33
	v_lshl_add_u64 v[24:25], v[22:23], 2, s[4:5]
	.loc	1 44 22                         ; log_softmax_aot.py:44:22
	global_load_dword v123, v[24:25], off
.LBB0_109:                              ;   in Loop: Header=BB0_85 Depth=1
	.loc	1 0 22 is_stmt 0                ; log_softmax_aot.py:0:22
	s_or_b64 exec, exec, s[56:57]
	.loc	1 41 69 is_stmt 1               ; log_softmax_aot.py:41:69
	v_add_u32_e32 v24, s15, v109
	.loc	1 44 22                         ; log_softmax_aot.py:44:22
	v_mov_b32_e32 v125, 0xff800000
	.loc	1 42 41                         ; log_softmax_aot.py:42:41
	s_and_b64 s[56:57], s[22:23], vcc
	.loc	1 43 33                         ; log_softmax_aot.py:43:33
	v_ashrrev_i32_e32 v25, 31, v24
	v_mov_b32_e32 v126, v125
	.loc	1 44 22                         ; log_softmax_aot.py:44:22
	s_and_saveexec_b64 s[58:59], s[56:57]
	s_cbranch_execz .LBB0_111
; %bb.110:                              ;   in Loop: Header=BB0_85 Depth=1
	.loc	1 43 33                         ; log_softmax_aot.py:43:33
	v_lshl_add_u64 v[26:27], v[24:25], 2, s[4:5]
	.loc	1 44 22                         ; log_softmax_aot.py:44:22
	global_load_dword v126, v[26:27], off
.LBB0_111:                              ;   in Loop: Header=BB0_85 Depth=1
	.loc	1 0 22 is_stmt 0                ; log_softmax_aot.py:0:22
	s_or_b64 exec, exec, s[58:59]
	.loc	1 41 69 is_stmt 1               ; log_softmax_aot.py:41:69
	v_add_u32_e32 v26, s15, v101
	.loc	1 42 41                         ; log_softmax_aot.py:42:41
	s_and_b64 s[58:59], s[22:23], s[0:1]
	.loc	1 43 33                         ; log_softmax_aot.py:43:33
	v_ashrrev_i32_e32 v27, 31, v26
	.loc	1 44 22                         ; log_softmax_aot.py:44:22
	s_and_saveexec_b64 s[60:61], s[58:59]
	s_cbranch_execz .LBB0_113
; %bb.112:                              ;   in Loop: Header=BB0_85 Depth=1
	.loc	1 43 33                         ; log_softmax_aot.py:43:33
	v_lshl_add_u64 v[28:29], v[26:27], 2, s[4:5]
	.loc	1 44 22                         ; log_softmax_aot.py:44:22
	global_load_dword v125, v[28:29], off
.LBB0_113:                              ;   in Loop: Header=BB0_85 Depth=1
	.loc	1 0 22 is_stmt 0                ; log_softmax_aot.py:0:22
	s_or_b64 exec, exec, s[60:61]
	.loc	1 41 69 is_stmt 1               ; log_softmax_aot.py:41:69
	v_add_u32_e32 v28, s15, v93
	.loc	1 44 22                         ; log_softmax_aot.py:44:22
	v_mov_b32_e32 v127, 0xff800000
	.loc	1 42 41                         ; log_softmax_aot.py:42:41
	s_and_b64 s[60:61], s[22:23], s[10:11]
	.loc	1 43 33                         ; log_softmax_aot.py:43:33
	v_ashrrev_i32_e32 v29, 31, v28
	v_mov_b32_e32 v128, v127
	.loc	1 44 22                         ; log_softmax_aot.py:44:22
	s_and_saveexec_b64 s[62:63], s[60:61]
	s_cbranch_execz .LBB0_115
; %bb.114:                              ;   in Loop: Header=BB0_85 Depth=1
	.loc	1 43 33                         ; log_softmax_aot.py:43:33
	v_lshl_add_u64 v[30:31], v[28:29], 2, s[4:5]
	.loc	1 44 22                         ; log_softmax_aot.py:44:22
	global_load_dword v128, v[30:31], off
.LBB0_115:                              ;   in Loop: Header=BB0_85 Depth=1
	.loc	1 0 22 is_stmt 0                ; log_softmax_aot.py:0:22
	s_or_b64 exec, exec, s[62:63]
	.loc	1 41 69 is_stmt 1               ; log_softmax_aot.py:41:69
	v_add_u32_e32 v30, s15, v85
	.loc	1 42 41                         ; log_softmax_aot.py:42:41
	s_and_b64 s[62:63], s[22:23], s[8:9]
	.loc	1 43 33                         ; log_softmax_aot.py:43:33
	v_ashrrev_i32_e32 v31, 31, v30
	.loc	1 44 22                         ; log_softmax_aot.py:44:22
	s_and_saveexec_b64 s[64:65], s[62:63]
	s_cbranch_execz .LBB0_117
; %bb.116:                              ;   in Loop: Header=BB0_85 Depth=1
	.loc	1 43 33                         ; log_softmax_aot.py:43:33
	v_lshl_add_u64 v[32:33], v[30:31], 2, s[4:5]
	.loc	1 44 22                         ; log_softmax_aot.py:44:22
	global_load_dword v127, v[32:33], off
.LBB0_117:                              ;   in Loop: Header=BB0_85 Depth=1
	.loc	1 0 22 is_stmt 0                ; log_softmax_aot.py:0:22
	s_or_b64 exec, exec, s[64:65]
	.loc	1 41 69 is_stmt 1               ; log_softmax_aot.py:41:69
	v_add_u32_e32 v32, s15, v108
	.loc	1 44 22                         ; log_softmax_aot.py:44:22
	v_mov_b32_e32 v129, 0xff800000
	.loc	1 42 41                         ; log_softmax_aot.py:42:41
	s_and_b64 s[64:65], s[24:25], vcc
	.loc	1 43 33                         ; log_softmax_aot.py:43:33
	v_ashrrev_i32_e32 v33, 31, v32
	v_mov_b32_e32 v130, v129
	.loc	1 44 22                         ; log_softmax_aot.py:44:22
	s_and_saveexec_b64 s[66:67], s[64:65]
	s_cbranch_execz .LBB0_119
; %bb.118:                              ;   in Loop: Header=BB0_85 Depth=1
	.loc	1 43 33                         ; log_softmax_aot.py:43:33
	v_lshl_add_u64 v[34:35], v[32:33], 2, s[4:5]
	.loc	1 44 22                         ; log_softmax_aot.py:44:22
	global_load_dword v130, v[34:35], off
.LBB0_119:                              ;   in Loop: Header=BB0_85 Depth=1
	.loc	1 0 22 is_stmt 0                ; log_softmax_aot.py:0:22
	s_or_b64 exec, exec, s[66:67]
	.loc	1 41 69 is_stmt 1               ; log_softmax_aot.py:41:69
	v_add_u32_e32 v34, s15, v100
	.loc	1 42 41                         ; log_softmax_aot.py:42:41
	s_and_b64 s[66:67], s[24:25], s[0:1]
	.loc	1 43 33                         ; log_softmax_aot.py:43:33
	v_ashrrev_i32_e32 v35, 31, v34
	.loc	1 44 22                         ; log_softmax_aot.py:44:22
	s_and_saveexec_b64 s[68:69], s[66:67]
	s_cbranch_execz .LBB0_121
; %bb.120:                              ;   in Loop: Header=BB0_85 Depth=1
	.loc	1 43 33                         ; log_softmax_aot.py:43:33
	v_lshl_add_u64 v[36:37], v[34:35], 2, s[4:5]
	.loc	1 44 22                         ; log_softmax_aot.py:44:22
	global_load_dword v129, v[36:37], off
.LBB0_121:                              ;   in Loop: Header=BB0_85 Depth=1
	.loc	1 0 22 is_stmt 0                ; log_softmax_aot.py:0:22
	s_or_b64 exec, exec, s[68:69]
	.loc	1 41 69 is_stmt 1               ; log_softmax_aot.py:41:69
	v_add_u32_e32 v36, s15, v92
	.loc	1 44 22                         ; log_softmax_aot.py:44:22
	v_mov_b32_e32 v131, 0xff800000
	.loc	1 42 41                         ; log_softmax_aot.py:42:41
	s_and_b64 s[68:69], s[24:25], s[10:11]
	.loc	1 43 33                         ; log_softmax_aot.py:43:33
	v_ashrrev_i32_e32 v37, 31, v36
	v_mov_b32_e32 v132, v131
	.loc	1 44 22                         ; log_softmax_aot.py:44:22
	s_and_saveexec_b64 s[70:71], s[68:69]
	s_cbranch_execz .LBB0_123
; %bb.122:                              ;   in Loop: Header=BB0_85 Depth=1
	.loc	1 43 33                         ; log_softmax_aot.py:43:33
	v_lshl_add_u64 v[38:39], v[36:37], 2, s[4:5]
	.loc	1 44 22                         ; log_softmax_aot.py:44:22
	global_load_dword v132, v[38:39], off
.LBB0_123:                              ;   in Loop: Header=BB0_85 Depth=1
	.loc	1 0 22 is_stmt 0                ; log_softmax_aot.py:0:22
	s_or_b64 exec, exec, s[70:71]
	.loc	1 41 69 is_stmt 1               ; log_softmax_aot.py:41:69
	v_add_u32_e32 v38, s15, v84
	.loc	1 42 41                         ; log_softmax_aot.py:42:41
	s_and_b64 s[70:71], s[24:25], s[8:9]
	.loc	1 43 33                         ; log_softmax_aot.py:43:33
	v_ashrrev_i32_e32 v39, 31, v38
	.loc	1 44 22                         ; log_softmax_aot.py:44:22
	s_and_saveexec_b64 s[72:73], s[70:71]
	s_cbranch_execz .LBB0_125
; %bb.124:                              ;   in Loop: Header=BB0_85 Depth=1
	.loc	1 43 33                         ; log_softmax_aot.py:43:33
	v_lshl_add_u64 v[40:41], v[38:39], 2, s[4:5]
	.loc	1 44 22                         ; log_softmax_aot.py:44:22
	global_load_dword v131, v[40:41], off
.LBB0_125:                              ;   in Loop: Header=BB0_85 Depth=1
	.loc	1 0 22 is_stmt 0                ; log_softmax_aot.py:0:22
	s_or_b64 exec, exec, s[72:73]
	.loc	1 41 69 is_stmt 1               ; log_softmax_aot.py:41:69
	v_add_u32_e32 v40, s15, v107
	.loc	1 44 22                         ; log_softmax_aot.py:44:22
	v_mov_b32_e32 v133, 0xff800000
	.loc	1 42 41                         ; log_softmax_aot.py:42:41
	s_and_b64 s[72:73], s[26:27], vcc
	.loc	1 43 33                         ; log_softmax_aot.py:43:33
	v_ashrrev_i32_e32 v41, 31, v40
	v_mov_b32_e32 v134, v133
	.loc	1 44 22                         ; log_softmax_aot.py:44:22
	s_and_saveexec_b64 s[74:75], s[72:73]
	s_cbranch_execz .LBB0_127
; %bb.126:                              ;   in Loop: Header=BB0_85 Depth=1
	.loc	1 43 33                         ; log_softmax_aot.py:43:33
	v_lshl_add_u64 v[42:43], v[40:41], 2, s[4:5]
	.loc	1 44 22                         ; log_softmax_aot.py:44:22
	global_load_dword v134, v[42:43], off
.LBB0_127:                              ;   in Loop: Header=BB0_85 Depth=1
	.loc	1 0 22 is_stmt 0                ; log_softmax_aot.py:0:22
	s_or_b64 exec, exec, s[74:75]
	.loc	1 41 69 is_stmt 1               ; log_softmax_aot.py:41:69
	v_add_u32_e32 v42, s15, v99
	.loc	1 42 41                         ; log_softmax_aot.py:42:41
	s_and_b64 s[74:75], s[26:27], s[0:1]
	.loc	1 43 33                         ; log_softmax_aot.py:43:33
	v_ashrrev_i32_e32 v43, 31, v42
	.loc	1 44 22                         ; log_softmax_aot.py:44:22
	s_and_saveexec_b64 s[76:77], s[74:75]
	s_cbranch_execz .LBB0_129
; %bb.128:                              ;   in Loop: Header=BB0_85 Depth=1
	.loc	1 43 33                         ; log_softmax_aot.py:43:33
	v_lshl_add_u64 v[44:45], v[42:43], 2, s[4:5]
	.loc	1 44 22                         ; log_softmax_aot.py:44:22
	global_load_dword v133, v[44:45], off
.LBB0_129:                              ;   in Loop: Header=BB0_85 Depth=1
	.loc	1 0 22 is_stmt 0                ; log_softmax_aot.py:0:22
	s_or_b64 exec, exec, s[76:77]
	.loc	1 41 69 is_stmt 1               ; log_softmax_aot.py:41:69
	v_add_u32_e32 v44, s15, v91
	.loc	1 44 22                         ; log_softmax_aot.py:44:22
	v_mov_b32_e32 v135, 0xff800000
	.loc	1 42 41                         ; log_softmax_aot.py:42:41
	s_and_b64 s[76:77], s[26:27], s[10:11]
	.loc	1 43 33                         ; log_softmax_aot.py:43:33
	v_ashrrev_i32_e32 v45, 31, v44
	v_mov_b32_e32 v136, v135
	.loc	1 44 22                         ; log_softmax_aot.py:44:22
	s_and_saveexec_b64 s[78:79], s[76:77]
	s_cbranch_execz .LBB0_131
; %bb.130:                              ;   in Loop: Header=BB0_85 Depth=1
	.loc	1 43 33                         ; log_softmax_aot.py:43:33
	v_lshl_add_u64 v[46:47], v[44:45], 2, s[4:5]
	.loc	1 44 22                         ; log_softmax_aot.py:44:22
	global_load_dword v136, v[46:47], off
.LBB0_131:                              ;   in Loop: Header=BB0_85 Depth=1
	.loc	1 0 22 is_stmt 0                ; log_softmax_aot.py:0:22
	s_or_b64 exec, exec, s[78:79]
	.loc	1 41 69 is_stmt 1               ; log_softmax_aot.py:41:69
	v_add_u32_e32 v46, s15, v83
	.loc	1 42 41                         ; log_softmax_aot.py:42:41
	s_and_b64 s[78:79], s[26:27], s[8:9]
	.loc	1 43 33                         ; log_softmax_aot.py:43:33
	v_ashrrev_i32_e32 v47, 31, v46
	.loc	1 44 22                         ; log_softmax_aot.py:44:22
	s_and_saveexec_b64 s[80:81], s[78:79]
	s_cbranch_execz .LBB0_133
; %bb.132:                              ;   in Loop: Header=BB0_85 Depth=1
	.loc	1 43 33                         ; log_softmax_aot.py:43:33
	v_lshl_add_u64 v[48:49], v[46:47], 2, s[4:5]
	.loc	1 44 22                         ; log_softmax_aot.py:44:22
	global_load_dword v135, v[48:49], off
.LBB0_133:                              ;   in Loop: Header=BB0_85 Depth=1
	.loc	1 0 22 is_stmt 0                ; log_softmax_aot.py:0:22
	s_or_b64 exec, exec, s[80:81]
	.loc	1 41 69 is_stmt 1               ; log_softmax_aot.py:41:69
	v_add_u32_e32 v48, s15, v106
	.loc	1 44 22                         ; log_softmax_aot.py:44:22
	v_mov_b32_e32 v137, 0xff800000
	.loc	1 42 41                         ; log_softmax_aot.py:42:41
	s_and_b64 s[80:81], s[28:29], vcc
	.loc	1 43 33                         ; log_softmax_aot.py:43:33
	v_ashrrev_i32_e32 v49, 31, v48
	v_mov_b32_e32 v138, v137
	.loc	1 44 22                         ; log_softmax_aot.py:44:22
	s_and_saveexec_b64 s[82:83], s[80:81]
	s_cbranch_execz .LBB0_135
; %bb.134:                              ;   in Loop: Header=BB0_85 Depth=1
	.loc	1 43 33                         ; log_softmax_aot.py:43:33
	v_lshl_add_u64 v[50:51], v[48:49], 2, s[4:5]
	.loc	1 44 22                         ; log_softmax_aot.py:44:22
	global_load_dword v138, v[50:51], off
.LBB0_135:                              ;   in Loop: Header=BB0_85 Depth=1
	.loc	1 0 22 is_stmt 0                ; log_softmax_aot.py:0:22
	s_or_b64 exec, exec, s[82:83]
	.loc	1 41 69 is_stmt 1               ; log_softmax_aot.py:41:69
	v_add_u32_e32 v50, s15, v98
	.loc	1 42 41                         ; log_softmax_aot.py:42:41
	s_and_b64 s[82:83], s[28:29], s[0:1]
	.loc	1 43 33                         ; log_softmax_aot.py:43:33
	v_ashrrev_i32_e32 v51, 31, v50
	.loc	1 44 22                         ; log_softmax_aot.py:44:22
	s_and_saveexec_b64 s[84:85], s[82:83]
	s_cbranch_execz .LBB0_137
; %bb.136:                              ;   in Loop: Header=BB0_85 Depth=1
	.loc	1 43 33                         ; log_softmax_aot.py:43:33
	v_lshl_add_u64 v[52:53], v[50:51], 2, s[4:5]
	.loc	1 44 22                         ; log_softmax_aot.py:44:22
	global_load_dword v137, v[52:53], off
.LBB0_137:                              ;   in Loop: Header=BB0_85 Depth=1
	.loc	1 0 22 is_stmt 0                ; log_softmax_aot.py:0:22
	s_or_b64 exec, exec, s[84:85]
	.loc	1 41 69 is_stmt 1               ; log_softmax_aot.py:41:69
	v_add_u32_e32 v52, s15, v90
	.loc	1 44 22                         ; log_softmax_aot.py:44:22
	v_mov_b32_e32 v139, 0xff800000
	.loc	1 42 41                         ; log_softmax_aot.py:42:41
	s_and_b64 s[84:85], s[28:29], s[10:11]
	.loc	1 43 33                         ; log_softmax_aot.py:43:33
	v_ashrrev_i32_e32 v53, 31, v52
	v_mov_b32_e32 v140, v139
	.loc	1 44 22                         ; log_softmax_aot.py:44:22
	s_and_saveexec_b64 s[86:87], s[84:85]
	s_cbranch_execz .LBB0_139
; %bb.138:                              ;   in Loop: Header=BB0_85 Depth=1
	.loc	1 43 33                         ; log_softmax_aot.py:43:33
	v_lshl_add_u64 v[54:55], v[52:53], 2, s[4:5]
	.loc	1 44 22                         ; log_softmax_aot.py:44:22
	global_load_dword v140, v[54:55], off
.LBB0_139:                              ;   in Loop: Header=BB0_85 Depth=1
	.loc	1 0 22 is_stmt 0                ; log_softmax_aot.py:0:22
	s_or_b64 exec, exec, s[86:87]
	.loc	1 41 69 is_stmt 1               ; log_softmax_aot.py:41:69
	v_add_u32_e32 v54, s15, v82
	.loc	1 42 41                         ; log_softmax_aot.py:42:41
	s_and_b64 s[86:87], s[28:29], s[8:9]
	.loc	1 43 33                         ; log_softmax_aot.py:43:33
	v_ashrrev_i32_e32 v55, 31, v54
	.loc	1 44 22                         ; log_softmax_aot.py:44:22
	s_and_saveexec_b64 s[88:89], s[86:87]
	s_cbranch_execz .LBB0_141
; %bb.140:                              ;   in Loop: Header=BB0_85 Depth=1
	.loc	1 43 33                         ; log_softmax_aot.py:43:33
	v_lshl_add_u64 v[56:57], v[54:55], 2, s[4:5]
	.loc	1 44 22                         ; log_softmax_aot.py:44:22
	global_load_dword v139, v[56:57], off
.LBB0_141:                              ;   in Loop: Header=BB0_85 Depth=1
	.loc	1 0 22 is_stmt 0                ; log_softmax_aot.py:0:22
	s_or_b64 exec, exec, s[88:89]
	.loc	1 41 69 is_stmt 1               ; log_softmax_aot.py:41:69
	v_add_u32_e32 v56, s15, v105
	.loc	1 44 22                         ; log_softmax_aot.py:44:22
	v_mov_b32_e32 v141, 0xff800000
	.loc	1 42 41                         ; log_softmax_aot.py:42:41
	s_and_b64 s[88:89], s[30:31], vcc
	.loc	1 43 33                         ; log_softmax_aot.py:43:33
	v_ashrrev_i32_e32 v57, 31, v56
	v_mov_b32_e32 v142, v141
	.loc	1 44 22                         ; log_softmax_aot.py:44:22
	s_and_saveexec_b64 s[90:91], s[88:89]
	s_cbranch_execz .LBB0_143
; %bb.142:                              ;   in Loop: Header=BB0_85 Depth=1
	.loc	1 43 33                         ; log_softmax_aot.py:43:33
	v_lshl_add_u64 v[58:59], v[56:57], 2, s[4:5]
	.loc	1 44 22                         ; log_softmax_aot.py:44:22
	global_load_dword v142, v[58:59], off
.LBB0_143:                              ;   in Loop: Header=BB0_85 Depth=1
	.loc	1 0 22 is_stmt 0                ; log_softmax_aot.py:0:22
	s_or_b64 exec, exec, s[90:91]
	.loc	1 41 69 is_stmt 1               ; log_softmax_aot.py:41:69
	v_add_u32_e32 v58, s15, v97
	.loc	1 42 41                         ; log_softmax_aot.py:42:41
	s_and_b64 s[0:1], s[30:31], s[0:1]
	.loc	1 43 33                         ; log_softmax_aot.py:43:33
	v_ashrrev_i32_e32 v59, 31, v58
	.loc	1 44 22                         ; log_softmax_aot.py:44:22
	s_and_saveexec_b64 s[90:91], s[0:1]
	s_cbranch_execz .LBB0_145
; %bb.144:                              ;   in Loop: Header=BB0_85 Depth=1
	.loc	1 43 33                         ; log_softmax_aot.py:43:33
	v_lshl_add_u64 v[60:61], v[58:59], 2, s[4:5]
	.loc	1 44 22                         ; log_softmax_aot.py:44:22
	global_load_dword v141, v[60:61], off
.LBB0_145:                              ;   in Loop: Header=BB0_85 Depth=1
	.loc	1 0 22 is_stmt 0                ; log_softmax_aot.py:0:22
	s_or_b64 exec, exec, s[90:91]
	.loc	1 41 69 is_stmt 1               ; log_softmax_aot.py:41:69
	v_add_u32_e32 v60, s15, v89
	.loc	1 44 22                         ; log_softmax_aot.py:44:22
	v_mov_b32_e32 v143, 0xff800000
	.loc	1 42 41                         ; log_softmax_aot.py:42:41
	s_and_b64 s[10:11], s[30:31], s[10:11]
	.loc	1 43 33                         ; log_softmax_aot.py:43:33
	v_ashrrev_i32_e32 v61, 31, v60
	v_mov_b32_e32 v144, v143
	.loc	1 44 22                         ; log_softmax_aot.py:44:22
	s_and_saveexec_b64 s[90:91], s[10:11]
	s_cbranch_execz .LBB0_147
; %bb.146:                              ;   in Loop: Header=BB0_85 Depth=1
	.loc	1 43 33                         ; log_softmax_aot.py:43:33
	v_lshl_add_u64 v[62:63], v[60:61], 2, s[4:5]
	.loc	1 44 22                         ; log_softmax_aot.py:44:22
	global_load_dword v144, v[62:63], off
.LBB0_147:                              ;   in Loop: Header=BB0_85 Depth=1
	.loc	1 0 22 is_stmt 0                ; log_softmax_aot.py:0:22
	s_or_b64 exec, exec, s[90:91]
	.loc	1 42 61 is_stmt 1               ; log_softmax_aot.py:42:61
	v_add_u32_e32 v62, s15, v81
	.loc	1 42 41 is_stmt 0               ; log_softmax_aot.py:42:41
	s_and_b64 s[8:9], s[30:31], s[8:9]
	.loc	1 43 33 is_stmt 1               ; log_softmax_aot.py:43:33
	v_ashrrev_i32_e32 v63, 31, v62
	.loc	1 44 22                         ; log_softmax_aot.py:44:22
	s_and_saveexec_b64 s[90:91], s[8:9]
	s_cbranch_execnz .LBB0_180
; %bb.148:                              ;   in Loop: Header=BB0_85 Depth=1
	.loc	1 0 22 is_stmt 0                ; log_softmax_aot.py:0:22
	s_or_b64 exec, exec, s[90:91]
	.loc	1 46 38 is_stmt 1               ; log_softmax_aot.py:46:38
	s_and_saveexec_b64 s[90:91], s[12:13]
	s_cbranch_execnz .LBB0_181
.LBB0_149:                              ;   in Loop: Header=BB0_85 Depth=1
	.loc	1 0 38 is_stmt 0                ; log_softmax_aot.py:0:38
	s_or_b64 exec, exec, s[90:91]
	.loc	1 46 38                         ; log_softmax_aot.py:46:38
	s_and_saveexec_b64 s[12:13], s[34:35]
	s_cbranch_execnz .LBB0_182
.LBB0_150:                              ;   in Loop: Header=BB0_85 Depth=1
	.loc	1 0 38                          ; log_softmax_aot.py:0:38
	s_or_b64 exec, exec, s[12:13]
	.loc	1 46 38                         ; log_softmax_aot.py:46:38
	s_and_saveexec_b64 s[12:13], s[36:37]
	s_cbranch_execnz .LBB0_183
.LBB0_151:                              ;   in Loop: Header=BB0_85 Depth=1
	.loc	1 0 38                          ; log_softmax_aot.py:0:38
	s_or_b64 exec, exec, s[12:13]
	.loc	1 46 38                         ; log_softmax_aot.py:46:38
	s_and_saveexec_b64 s[12:13], s[38:39]
	s_cbranch_execnz .LBB0_184
.LBB0_152:                              ;   in Loop: Header=BB0_85 Depth=1
	.loc	1 0 38                          ; log_softmax_aot.py:0:38
	s_or_b64 exec, exec, s[12:13]
	.loc	1 46 38                         ; log_softmax_aot.py:46:38
	s_and_saveexec_b64 s[12:13], s[40:41]
	s_cbranch_execnz .LBB0_185
.LBB0_153:                              ;   in Loop: Header=BB0_85 Depth=1
	.loc	1 0 38                          ; log_softmax_aot.py:0:38
	s_or_b64 exec, exec, s[12:13]
	.loc	1 46 38                         ; log_softmax_aot.py:46:38
	s_and_saveexec_b64 s[12:13], s[42:43]
	s_cbranch_execnz .LBB0_186
.LBB0_154:                              ;   in Loop: Header=BB0_85 Depth=1
	.loc	1 0 38                          ; log_softmax_aot.py:0:38
	s_or_b64 exec, exec, s[12:13]
	.loc	1 46 38                         ; log_softmax_aot.py:46:38
	s_and_saveexec_b64 s[12:13], s[44:45]
	s_cbranch_execnz .LBB0_187
.LBB0_155:                              ;   in Loop: Header=BB0_85 Depth=1
	.loc	1 0 38                          ; log_softmax_aot.py:0:38
	s_or_b64 exec, exec, s[12:13]
	.loc	1 46 38                         ; log_softmax_aot.py:46:38
	s_and_saveexec_b64 s[12:13], s[46:47]
	s_cbranch_execnz .LBB0_188
.LBB0_156:                              ;   in Loop: Header=BB0_85 Depth=1
	.loc	1 0 38                          ; log_softmax_aot.py:0:38
	s_or_b64 exec, exec, s[12:13]
	.loc	1 46 38                         ; log_softmax_aot.py:46:38
	s_and_saveexec_b64 s[12:13], s[48:49]
	s_cbranch_execnz .LBB0_189
.LBB0_157:                              ;   in Loop: Header=BB0_85 Depth=1
	.loc	1 0 38                          ; log_softmax_aot.py:0:38
	s_or_b64 exec, exec, s[12:13]
	.loc	1 46 38                         ; log_softmax_aot.py:46:38
	s_and_saveexec_b64 s[12:13], s[50:51]
	s_cbranch_execnz .LBB0_190
.LBB0_158:                              ;   in Loop: Header=BB0_85 Depth=1
	.loc	1 0 38                          ; log_softmax_aot.py:0:38
	s_or_b64 exec, exec, s[12:13]
	.loc	1 46 38                         ; log_softmax_aot.py:46:38
	s_and_saveexec_b64 s[12:13], s[52:53]
	s_cbranch_execnz .LBB0_191
.LBB0_159:                              ;   in Loop: Header=BB0_85 Depth=1
	.loc	1 0 38                          ; log_softmax_aot.py:0:38
	s_or_b64 exec, exec, s[12:13]
	.loc	1 46 38                         ; log_softmax_aot.py:46:38
	s_and_saveexec_b64 s[12:13], s[54:55]
	s_cbranch_execnz .LBB0_192
.LBB0_160:                              ;   in Loop: Header=BB0_85 Depth=1
	.loc	1 0 38                          ; log_softmax_aot.py:0:38
	s_or_b64 exec, exec, s[12:13]
	.loc	1 46 38                         ; log_softmax_aot.py:46:38
	s_and_saveexec_b64 s[12:13], s[56:57]
	s_cbranch_execnz .LBB0_193
.LBB0_161:                              ;   in Loop: Header=BB0_85 Depth=1
	.loc	1 0 38                          ; log_softmax_aot.py:0:38
	s_or_b64 exec, exec, s[12:13]
	.loc	1 46 38                         ; log_softmax_aot.py:46:38
	s_and_saveexec_b64 s[12:13], s[58:59]
	s_cbranch_execnz .LBB0_194
.LBB0_162:                              ;   in Loop: Header=BB0_85 Depth=1
	.loc	1 0 38                          ; log_softmax_aot.py:0:38
	s_or_b64 exec, exec, s[12:13]
	.loc	1 46 38                         ; log_softmax_aot.py:46:38
	s_and_saveexec_b64 s[12:13], s[60:61]
	s_cbranch_execnz .LBB0_195
.LBB0_163:                              ;   in Loop: Header=BB0_85 Depth=1
	.loc	1 0 38                          ; log_softmax_aot.py:0:38
	s_or_b64 exec, exec, s[12:13]
	.loc	1 46 38                         ; log_softmax_aot.py:46:38
	s_and_saveexec_b64 s[12:13], s[62:63]
	s_cbranch_execnz .LBB0_196
.LBB0_164:                              ;   in Loop: Header=BB0_85 Depth=1
	.loc	1 0 38                          ; log_softmax_aot.py:0:38
	s_or_b64 exec, exec, s[12:13]
	.loc	1 46 38                         ; log_softmax_aot.py:46:38
	s_and_saveexec_b64 s[12:13], s[64:65]
	s_cbranch_execnz .LBB0_197
.LBB0_165:                              ;   in Loop: Header=BB0_85 Depth=1
	.loc	1 0 38                          ; log_softmax_aot.py:0:38
	s_or_b64 exec, exec, s[12:13]
	.loc	1 46 38                         ; log_softmax_aot.py:46:38
	s_and_saveexec_b64 s[12:13], s[66:67]
	s_cbranch_execnz .LBB0_198
.LBB0_166:                              ;   in Loop: Header=BB0_85 Depth=1
	.loc	1 0 38                          ; log_softmax_aot.py:0:38
	s_or_b64 exec, exec, s[12:13]
	.loc	1 46 38                         ; log_softmax_aot.py:46:38
	s_and_saveexec_b64 s[12:13], s[68:69]
	s_cbranch_execnz .LBB0_199
.LBB0_167:                              ;   in Loop: Header=BB0_85 Depth=1
	.loc	1 0 38                          ; log_softmax_aot.py:0:38
	s_or_b64 exec, exec, s[12:13]
	.loc	1 46 38                         ; log_softmax_aot.py:46:38
	s_and_saveexec_b64 s[12:13], s[70:71]
	s_cbranch_execnz .LBB0_200
.LBB0_168:                              ;   in Loop: Header=BB0_85 Depth=1
	.loc	1 0 38                          ; log_softmax_aot.py:0:38
	s_or_b64 exec, exec, s[12:13]
	.loc	1 46 38                         ; log_softmax_aot.py:46:38
	s_and_saveexec_b64 s[12:13], s[72:73]
	s_cbranch_execnz .LBB0_201
.LBB0_169:                              ;   in Loop: Header=BB0_85 Depth=1
	.loc	1 0 38                          ; log_softmax_aot.py:0:38
	s_or_b64 exec, exec, s[12:13]
	.loc	1 46 38                         ; log_softmax_aot.py:46:38
	s_and_saveexec_b64 s[12:13], s[74:75]
	s_cbranch_execnz .LBB0_202
.LBB0_170:                              ;   in Loop: Header=BB0_85 Depth=1
	.loc	1 0 38                          ; log_softmax_aot.py:0:38
	s_or_b64 exec, exec, s[12:13]
	.loc	1 46 38                         ; log_softmax_aot.py:46:38
	s_and_saveexec_b64 s[12:13], s[76:77]
	s_cbranch_execnz .LBB0_203
.LBB0_171:                              ;   in Loop: Header=BB0_85 Depth=1
	.loc	1 0 38                          ; log_softmax_aot.py:0:38
	s_or_b64 exec, exec, s[12:13]
	.loc	1 46 38                         ; log_softmax_aot.py:46:38
	s_and_saveexec_b64 s[12:13], s[78:79]
	s_cbranch_execnz .LBB0_204
.LBB0_172:                              ;   in Loop: Header=BB0_85 Depth=1
	.loc	1 0 38                          ; log_softmax_aot.py:0:38
	s_or_b64 exec, exec, s[12:13]
	.loc	1 46 38                         ; log_softmax_aot.py:46:38
	s_and_saveexec_b64 s[12:13], s[80:81]
	s_cbranch_execnz .LBB0_205
.LBB0_173:                              ;   in Loop: Header=BB0_85 Depth=1
	.loc	1 0 38                          ; log_softmax_aot.py:0:38
	s_or_b64 exec, exec, s[12:13]
	.loc	1 46 38                         ; log_softmax_aot.py:46:38
	s_and_saveexec_b64 s[12:13], s[82:83]
	s_cbranch_execnz .LBB0_206
.LBB0_174:                              ;   in Loop: Header=BB0_85 Depth=1
	.loc	1 0 38                          ; log_softmax_aot.py:0:38
	s_or_b64 exec, exec, s[12:13]
	.loc	1 46 38                         ; log_softmax_aot.py:46:38
	s_and_saveexec_b64 s[12:13], s[84:85]
	s_cbranch_execnz .LBB0_207
.LBB0_175:                              ;   in Loop: Header=BB0_85 Depth=1
	.loc	1 0 38                          ; log_softmax_aot.py:0:38
	s_or_b64 exec, exec, s[12:13]
	.loc	1 46 38                         ; log_softmax_aot.py:46:38
	s_and_saveexec_b64 s[12:13], s[86:87]
	s_cbranch_execnz .LBB0_208
.LBB0_176:                              ;   in Loop: Header=BB0_85 Depth=1
	.loc	1 0 38                          ; log_softmax_aot.py:0:38
	s_or_b64 exec, exec, s[12:13]
	.loc	1 46 38                         ; log_softmax_aot.py:46:38
	s_and_saveexec_b64 s[12:13], s[88:89]
	s_cbranch_execnz .LBB0_209
.LBB0_177:                              ;   in Loop: Header=BB0_85 Depth=1
	.loc	1 0 38                          ; log_softmax_aot.py:0:38
	s_or_b64 exec, exec, s[12:13]
	.loc	1 46 38                         ; log_softmax_aot.py:46:38
	s_and_saveexec_b64 s[12:13], s[0:1]
	s_cbranch_execnz .LBB0_210
.LBB0_178:                              ;   in Loop: Header=BB0_85 Depth=1
	.loc	1 0 38                          ; log_softmax_aot.py:0:38
	s_or_b64 exec, exec, s[12:13]
	.loc	1 46 38                         ; log_softmax_aot.py:46:38
	s_and_saveexec_b64 s[0:1], s[10:11]
	s_cbranch_execnz .LBB0_211
.LBB0_179:                              ;   in Loop: Header=BB0_85 Depth=1
	.loc	1 0 38                          ; log_softmax_aot.py:0:38
	s_or_b64 exec, exec, s[0:1]
	.loc	1 46 38                         ; log_softmax_aot.py:46:38
	s_and_saveexec_b64 s[0:1], s[8:9]
	s_cbranch_execz .LBB0_84
	s_branch .LBB0_212
.LBB0_180:                              ;   in Loop: Header=BB0_85 Depth=1
	.loc	1 43 33 is_stmt 1               ; log_softmax_aot.py:43:33
	v_lshl_add_u64 v[146:147], v[62:63], 2, s[4:5]
	.loc	1 44 22                         ; log_softmax_aot.py:44:22
	global_load_dword v143, v[146:147], off
	s_or_b64 exec, exec, s[90:91]
	.loc	1 46 38                         ; log_softmax_aot.py:46:38
	s_and_saveexec_b64 s[90:91], s[12:13]
	s_cbranch_execz .LBB0_149
.LBB0_181:                              ;   in Loop: Header=BB0_85 Depth=1
	.loc	1 0 38 is_stmt 0                ; log_softmax_aot.py:0:38
	v_ashrrev_i32_e32 v1, 31, v0
	s_waitcnt vmcnt(0)
	v_sub_f32_e32 v114, v114, v64
	v_lshl_add_u64 v[0:1], v[0:1], 2, s[2:3]
	v_sub_f32_e32 v114, v114, v73
	.loc	1 46 38                         ; log_softmax_aot.py:46:38
	global_store_dword v[0:1], v114, off
	s_or_b64 exec, exec, s[90:91]
	s_and_saveexec_b64 s[12:13], s[34:35]
	s_cbranch_execz .LBB0_150
.LBB0_182:                              ;   in Loop: Header=BB0_85 Depth=1
	.loc	1 45 18 is_stmt 1               ; log_softmax_aot.py:45:18
	s_waitcnt vmcnt(0)
	v_sub_f32_e32 v0, v113, v64
	.loc	1 45 31 is_stmt 0               ; log_softmax_aot.py:45:31
	v_sub_f32_e32 v113, v0, v73
	.loc	1 46 30 is_stmt 1               ; log_softmax_aot.py:46:30
	v_lshl_add_u64 v[0:1], v[2:3], 2, s[2:3]
	.loc	1 46 38 is_stmt 0               ; log_softmax_aot.py:46:38
	global_store_dword v[0:1], v113, off
	s_or_b64 exec, exec, s[12:13]
	s_and_saveexec_b64 s[12:13], s[36:37]
	s_cbranch_execz .LBB0_151
.LBB0_183:                              ;   in Loop: Header=BB0_85 Depth=1
	.loc	1 45 18 is_stmt 1               ; log_softmax_aot.py:45:18
	s_waitcnt vmcnt(0)
	v_sub_f32_e32 v0, v116, v64
	.loc	1 45 31 is_stmt 0               ; log_softmax_aot.py:45:31
	v_sub_f32_e32 v2, v0, v73
	.loc	1 46 30 is_stmt 1               ; log_softmax_aot.py:46:30
	v_lshl_add_u64 v[0:1], v[4:5], 2, s[2:3]
	.loc	1 46 38 is_stmt 0               ; log_softmax_aot.py:46:38
	global_store_dword v[0:1], v2, off
	s_or_b64 exec, exec, s[12:13]
	s_and_saveexec_b64 s[12:13], s[38:39]
	s_cbranch_execz .LBB0_152
.LBB0_184:                              ;   in Loop: Header=BB0_85 Depth=1
	.loc	1 45 18 is_stmt 1               ; log_softmax_aot.py:45:18
	s_waitcnt vmcnt(0)
	v_sub_f32_e32 v0, v115, v64
	.loc	1 45 31 is_stmt 0               ; log_softmax_aot.py:45:31
	v_sub_f32_e32 v2, v0, v73
	.loc	1 46 30 is_stmt 1               ; log_softmax_aot.py:46:30
	v_lshl_add_u64 v[0:1], v[6:7], 2, s[2:3]
	.loc	1 46 38 is_stmt 0               ; log_softmax_aot.py:46:38
	global_store_dword v[0:1], v2, off
	s_or_b64 exec, exec, s[12:13]
	s_and_saveexec_b64 s[12:13], s[40:41]
	s_cbranch_execz .LBB0_153
.LBB0_185:                              ;   in Loop: Header=BB0_85 Depth=1
	.loc	1 45 18 is_stmt 1               ; log_softmax_aot.py:45:18
	s_waitcnt vmcnt(0)
	v_sub_f32_e32 v0, v118, v65
	.loc	1 45 31 is_stmt 0               ; log_softmax_aot.py:45:31
	v_sub_f32_e32 v2, v0, v74
	.loc	1 46 30 is_stmt 1               ; log_softmax_aot.py:46:30
	v_lshl_add_u64 v[0:1], v[8:9], 2, s[2:3]
	.loc	1 46 38 is_stmt 0               ; log_softmax_aot.py:46:38
	global_store_dword v[0:1], v2, off
	s_or_b64 exec, exec, s[12:13]
	s_and_saveexec_b64 s[12:13], s[42:43]
	s_cbranch_execz .LBB0_154
.LBB0_186:                              ;   in Loop: Header=BB0_85 Depth=1
	.loc	1 45 18 is_stmt 1               ; log_softmax_aot.py:45:18
	s_waitcnt vmcnt(0)
	v_sub_f32_e32 v0, v117, v65
	.loc	1 45 31 is_stmt 0               ; log_softmax_aot.py:45:31
	v_sub_f32_e32 v2, v0, v74
	.loc	1 46 30 is_stmt 1               ; log_softmax_aot.py:46:30
	v_lshl_add_u64 v[0:1], v[10:11], 2, s[2:3]
	.loc	1 46 38 is_stmt 0               ; log_softmax_aot.py:46:38
	global_store_dword v[0:1], v2, off
	s_or_b64 exec, exec, s[12:13]
	s_and_saveexec_b64 s[12:13], s[44:45]
	s_cbranch_execz .LBB0_155
.LBB0_187:                              ;   in Loop: Header=BB0_85 Depth=1
	.loc	1 45 18 is_stmt 1               ; log_softmax_aot.py:45:18
	s_waitcnt vmcnt(0)
	v_sub_f32_e32 v0, v120, v65
	.loc	1 45 31 is_stmt 0               ; log_softmax_aot.py:45:31
	v_sub_f32_e32 v2, v0, v74
	.loc	1 46 30 is_stmt 1               ; log_softmax_aot.py:46:30
	v_lshl_add_u64 v[0:1], v[12:13], 2, s[2:3]
	.loc	1 46 38 is_stmt 0               ; log_softmax_aot.py:46:38
	global_store_dword v[0:1], v2, off
	s_or_b64 exec, exec, s[12:13]
	s_and_saveexec_b64 s[12:13], s[46:47]
	s_cbranch_execz .LBB0_156
.LBB0_188:                              ;   in Loop: Header=BB0_85 Depth=1
	.loc	1 45 18 is_stmt 1               ; log_softmax_aot.py:45:18
	s_waitcnt vmcnt(0)
	v_sub_f32_e32 v0, v119, v65
	.loc	1 45 31 is_stmt 0               ; log_softmax_aot.py:45:31
	v_sub_f32_e32 v2, v0, v74
	.loc	1 46 30 is_stmt 1               ; log_softmax_aot.py:46:30
	v_lshl_add_u64 v[0:1], v[14:15], 2, s[2:3]
	.loc	1 46 38 is_stmt 0               ; log_softmax_aot.py:46:38
	global_store_dword v[0:1], v2, off
	s_or_b64 exec, exec, s[12:13]
	s_and_saveexec_b64 s[12:13], s[48:49]
	s_cbranch_execz .LBB0_157
.LBB0_189:                              ;   in Loop: Header=BB0_85 Depth=1
	.loc	1 45 18 is_stmt 1               ; log_softmax_aot.py:45:18
	s_waitcnt vmcnt(0)
	v_sub_f32_e32 v0, v122, v66
	.loc	1 45 31 is_stmt 0               ; log_softmax_aot.py:45:31
	v_sub_f32_e32 v2, v0, v75
	.loc	1 46 30 is_stmt 1               ; log_softmax_aot.py:46:30
	v_lshl_add_u64 v[0:1], v[16:17], 2, s[2:3]
	.loc	1 46 38 is_stmt 0               ; log_softmax_aot.py:46:38
	global_store_dword v[0:1], v2, off
	s_or_b64 exec, exec, s[12:13]
	s_and_saveexec_b64 s[12:13], s[50:51]
	s_cbranch_execz .LBB0_158
.LBB0_190:                              ;   in Loop: Header=BB0_85 Depth=1
	.loc	1 45 18 is_stmt 1               ; log_softmax_aot.py:45:18
	s_waitcnt vmcnt(0)
	v_sub_f32_e32 v0, v121, v66
	.loc	1 45 31 is_stmt 0               ; log_softmax_aot.py:45:31
	v_sub_f32_e32 v2, v0, v75
	.loc	1 46 30 is_stmt 1               ; log_softmax_aot.py:46:30
	v_lshl_add_u64 v[0:1], v[18:19], 2, s[2:3]
	.loc	1 46 38 is_stmt 0               ; log_softmax_aot.py:46:38
	global_store_dword v[0:1], v2, off
	s_or_b64 exec, exec, s[12:13]
	s_and_saveexec_b64 s[12:13], s[52:53]
	s_cbranch_execz .LBB0_159
.LBB0_191:                              ;   in Loop: Header=BB0_85 Depth=1
	.loc	1 45 18 is_stmt 1               ; log_softmax_aot.py:45:18
	s_waitcnt vmcnt(0)
	v_sub_f32_e32 v0, v124, v66
	.loc	1 45 31 is_stmt 0               ; log_softmax_aot.py:45:31
	v_sub_f32_e32 v2, v0, v75
	.loc	1 46 30 is_stmt 1               ; log_softmax_aot.py:46:30
	v_lshl_add_u64 v[0:1], v[20:21], 2, s[2:3]
	.loc	1 46 38 is_stmt 0               ; log_softmax_aot.py:46:38
	global_store_dword v[0:1], v2, off
	s_or_b64 exec, exec, s[12:13]
	s_and_saveexec_b64 s[12:13], s[54:55]
	s_cbranch_execz .LBB0_160
.LBB0_192:                              ;   in Loop: Header=BB0_85 Depth=1
	.loc	1 45 18 is_stmt 1               ; log_softmax_aot.py:45:18
	s_waitcnt vmcnt(0)
	v_sub_f32_e32 v0, v123, v66
	.loc	1 45 31 is_stmt 0               ; log_softmax_aot.py:45:31
	v_sub_f32_e32 v2, v0, v75
	.loc	1 46 30 is_stmt 1               ; log_softmax_aot.py:46:30
	v_lshl_add_u64 v[0:1], v[22:23], 2, s[2:3]
	.loc	1 46 38 is_stmt 0               ; log_softmax_aot.py:46:38
	global_store_dword v[0:1], v2, off
	s_or_b64 exec, exec, s[12:13]
	s_and_saveexec_b64 s[12:13], s[56:57]
	s_cbranch_execz .LBB0_161
.LBB0_193:                              ;   in Loop: Header=BB0_85 Depth=1
	.loc	1 45 18 is_stmt 1               ; log_softmax_aot.py:45:18
	s_waitcnt vmcnt(0)
	v_sub_f32_e32 v0, v126, v67
	.loc	1 45 31 is_stmt 0               ; log_softmax_aot.py:45:31
	v_sub_f32_e32 v2, v0, v76
	.loc	1 46 30 is_stmt 1               ; log_softmax_aot.py:46:30
	v_lshl_add_u64 v[0:1], v[24:25], 2, s[2:3]
	.loc	1 46 38 is_stmt 0               ; log_softmax_aot.py:46:38
	global_store_dword v[0:1], v2, off
	s_or_b64 exec, exec, s[12:13]
	s_and_saveexec_b64 s[12:13], s[58:59]
	s_cbranch_execz .LBB0_162
.LBB0_194:                              ;   in Loop: Header=BB0_85 Depth=1
	.loc	1 45 18 is_stmt 1               ; log_softmax_aot.py:45:18
	s_waitcnt vmcnt(0)
	v_sub_f32_e32 v0, v125, v67
	.loc	1 45 31 is_stmt 0               ; log_softmax_aot.py:45:31
	v_sub_f32_e32 v2, v0, v76
	.loc	1 46 30 is_stmt 1               ; log_softmax_aot.py:46:30
	v_lshl_add_u64 v[0:1], v[26:27], 2, s[2:3]
	.loc	1 46 38 is_stmt 0               ; log_softmax_aot.py:46:38
	global_store_dword v[0:1], v2, off
	s_or_b64 exec, exec, s[12:13]
	s_and_saveexec_b64 s[12:13], s[60:61]
	s_cbranch_execz .LBB0_163
.LBB0_195:                              ;   in Loop: Header=BB0_85 Depth=1
	.loc	1 45 18 is_stmt 1               ; log_softmax_aot.py:45:18
	s_waitcnt vmcnt(0)
	v_sub_f32_e32 v0, v128, v67
	.loc	1 45 31 is_stmt 0               ; log_softmax_aot.py:45:31
	v_sub_f32_e32 v2, v0, v76
	.loc	1 46 30 is_stmt 1               ; log_softmax_aot.py:46:30
	v_lshl_add_u64 v[0:1], v[28:29], 2, s[2:3]
	.loc	1 46 38 is_stmt 0               ; log_softmax_aot.py:46:38
	global_store_dword v[0:1], v2, off
	s_or_b64 exec, exec, s[12:13]
	s_and_saveexec_b64 s[12:13], s[62:63]
	s_cbranch_execz .LBB0_164
.LBB0_196:                              ;   in Loop: Header=BB0_85 Depth=1
	.loc	1 45 18 is_stmt 1               ; log_softmax_aot.py:45:18
	s_waitcnt vmcnt(0)
	v_sub_f32_e32 v0, v127, v67
	.loc	1 45 31 is_stmt 0               ; log_softmax_aot.py:45:31
	v_sub_f32_e32 v2, v0, v76
	.loc	1 46 30 is_stmt 1               ; log_softmax_aot.py:46:30
	v_lshl_add_u64 v[0:1], v[30:31], 2, s[2:3]
	.loc	1 46 38 is_stmt 0               ; log_softmax_aot.py:46:38
	global_store_dword v[0:1], v2, off
	s_or_b64 exec, exec, s[12:13]
	s_and_saveexec_b64 s[12:13], s[64:65]
	s_cbranch_execz .LBB0_165
.LBB0_197:                              ;   in Loop: Header=BB0_85 Depth=1
	.loc	1 45 18 is_stmt 1               ; log_softmax_aot.py:45:18
	s_waitcnt vmcnt(0)
	v_sub_f32_e32 v0, v130, v68
	.loc	1 45 31 is_stmt 0               ; log_softmax_aot.py:45:31
	v_sub_f32_e32 v2, v0, v77
	.loc	1 46 30 is_stmt 1               ; log_softmax_aot.py:46:30
	v_lshl_add_u64 v[0:1], v[32:33], 2, s[2:3]
	.loc	1 46 38 is_stmt 0               ; log_softmax_aot.py:46:38
	global_store_dword v[0:1], v2, off
	s_or_b64 exec, exec, s[12:13]
	s_and_saveexec_b64 s[12:13], s[66:67]
	s_cbranch_execz .LBB0_166
.LBB0_198:                              ;   in Loop: Header=BB0_85 Depth=1
	.loc	1 45 18 is_stmt 1               ; log_softmax_aot.py:45:18
	s_waitcnt vmcnt(0)
	v_sub_f32_e32 v0, v129, v68
	.loc	1 45 31 is_stmt 0               ; log_softmax_aot.py:45:31
	v_sub_f32_e32 v2, v0, v77
	.loc	1 46 30 is_stmt 1               ; log_softmax_aot.py:46:30
	v_lshl_add_u64 v[0:1], v[34:35], 2, s[2:3]
	.loc	1 46 38 is_stmt 0               ; log_softmax_aot.py:46:38
	global_store_dword v[0:1], v2, off
	s_or_b64 exec, exec, s[12:13]
	s_and_saveexec_b64 s[12:13], s[68:69]
	s_cbranch_execz .LBB0_167
.LBB0_199:                              ;   in Loop: Header=BB0_85 Depth=1
	.loc	1 45 18 is_stmt 1               ; log_softmax_aot.py:45:18
	s_waitcnt vmcnt(0)
	v_sub_f32_e32 v0, v132, v68
	.loc	1 45 31 is_stmt 0               ; log_softmax_aot.py:45:31
	v_sub_f32_e32 v2, v0, v77
	.loc	1 46 30 is_stmt 1               ; log_softmax_aot.py:46:30
	v_lshl_add_u64 v[0:1], v[36:37], 2, s[2:3]
	.loc	1 46 38 is_stmt 0               ; log_softmax_aot.py:46:38
	global_store_dword v[0:1], v2, off
	s_or_b64 exec, exec, s[12:13]
	s_and_saveexec_b64 s[12:13], s[70:71]
	s_cbranch_execz .LBB0_168
.LBB0_200:                              ;   in Loop: Header=BB0_85 Depth=1
	.loc	1 45 18 is_stmt 1               ; log_softmax_aot.py:45:18
	s_waitcnt vmcnt(0)
	v_sub_f32_e32 v0, v131, v68
	.loc	1 45 31 is_stmt 0               ; log_softmax_aot.py:45:31
	v_sub_f32_e32 v2, v0, v77
	.loc	1 46 30 is_stmt 1               ; log_softmax_aot.py:46:30
	v_lshl_add_u64 v[0:1], v[38:39], 2, s[2:3]
	.loc	1 46 38 is_stmt 0               ; log_softmax_aot.py:46:38
	global_store_dword v[0:1], v2, off
	s_or_b64 exec, exec, s[12:13]
	s_and_saveexec_b64 s[12:13], s[72:73]
	s_cbranch_execz .LBB0_169
.LBB0_201:                              ;   in Loop: Header=BB0_85 Depth=1
	.loc	1 45 18 is_stmt 1               ; log_softmax_aot.py:45:18
	s_waitcnt vmcnt(0)
	v_sub_f32_e32 v0, v134, v69
	.loc	1 45 31 is_stmt 0               ; log_softmax_aot.py:45:31
	v_sub_f32_e32 v2, v0, v78
	.loc	1 46 30 is_stmt 1               ; log_softmax_aot.py:46:30
	v_lshl_add_u64 v[0:1], v[40:41], 2, s[2:3]
	.loc	1 46 38 is_stmt 0               ; log_softmax_aot.py:46:38
	global_store_dword v[0:1], v2, off
	s_or_b64 exec, exec, s[12:13]
	s_and_saveexec_b64 s[12:13], s[74:75]
	s_cbranch_execz .LBB0_170
.LBB0_202:                              ;   in Loop: Header=BB0_85 Depth=1
	.loc	1 45 18 is_stmt 1               ; log_softmax_aot.py:45:18
	s_waitcnt vmcnt(0)
	v_sub_f32_e32 v0, v133, v69
	.loc	1 45 31 is_stmt 0               ; log_softmax_aot.py:45:31
	v_sub_f32_e32 v2, v0, v78
	.loc	1 46 30 is_stmt 1               ; log_softmax_aot.py:46:30
	v_lshl_add_u64 v[0:1], v[42:43], 2, s[2:3]
	.loc	1 46 38 is_stmt 0               ; log_softmax_aot.py:46:38
	global_store_dword v[0:1], v2, off
	s_or_b64 exec, exec, s[12:13]
	s_and_saveexec_b64 s[12:13], s[76:77]
	s_cbranch_execz .LBB0_171
.LBB0_203:                              ;   in Loop: Header=BB0_85 Depth=1
	.loc	1 45 18 is_stmt 1               ; log_softmax_aot.py:45:18
	s_waitcnt vmcnt(0)
	v_sub_f32_e32 v0, v136, v69
	.loc	1 45 31 is_stmt 0               ; log_softmax_aot.py:45:31
	v_sub_f32_e32 v2, v0, v78
	.loc	1 46 30 is_stmt 1               ; log_softmax_aot.py:46:30
	v_lshl_add_u64 v[0:1], v[44:45], 2, s[2:3]
	.loc	1 46 38 is_stmt 0               ; log_softmax_aot.py:46:38
	global_store_dword v[0:1], v2, off
	s_or_b64 exec, exec, s[12:13]
	s_and_saveexec_b64 s[12:13], s[78:79]
	s_cbranch_execz .LBB0_172
.LBB0_204:                              ;   in Loop: Header=BB0_85 Depth=1
	.loc	1 45 18 is_stmt 1               ; log_softmax_aot.py:45:18
	s_waitcnt vmcnt(0)
	v_sub_f32_e32 v0, v135, v69
	.loc	1 45 31 is_stmt 0               ; log_softmax_aot.py:45:31
	v_sub_f32_e32 v2, v0, v78
	.loc	1 46 30 is_stmt 1               ; log_softmax_aot.py:46:30
	v_lshl_add_u64 v[0:1], v[46:47], 2, s[2:3]
	.loc	1 46 38 is_stmt 0               ; log_softmax_aot.py:46:38
	global_store_dword v[0:1], v2, off
	s_or_b64 exec, exec, s[12:13]
	s_and_saveexec_b64 s[12:13], s[80:81]
	s_cbranch_execz .LBB0_173
.LBB0_205:                              ;   in Loop: Header=BB0_85 Depth=1
	.loc	1 45 18 is_stmt 1               ; log_softmax_aot.py:45:18
	s_waitcnt vmcnt(0)
	v_sub_f32_e32 v0, v138, v70
	.loc	1 45 31 is_stmt 0               ; log_softmax_aot.py:45:31
	v_sub_f32_e32 v2, v0, v79
	.loc	1 46 30 is_stmt 1               ; log_softmax_aot.py:46:30
	v_lshl_add_u64 v[0:1], v[48:49], 2, s[2:3]
	.loc	1 46 38 is_stmt 0               ; log_softmax_aot.py:46:38
	global_store_dword v[0:1], v2, off
	s_or_b64 exec, exec, s[12:13]
	s_and_saveexec_b64 s[12:13], s[82:83]
	s_cbranch_execz .LBB0_174
.LBB0_206:                              ;   in Loop: Header=BB0_85 Depth=1
	.loc	1 45 18 is_stmt 1               ; log_softmax_aot.py:45:18
	s_waitcnt vmcnt(0)
	v_sub_f32_e32 v0, v137, v70
	.loc	1 45 31 is_stmt 0               ; log_softmax_aot.py:45:31
	v_sub_f32_e32 v2, v0, v79
	.loc	1 46 30 is_stmt 1               ; log_softmax_aot.py:46:30
	v_lshl_add_u64 v[0:1], v[50:51], 2, s[2:3]
	.loc	1 46 38 is_stmt 0               ; log_softmax_aot.py:46:38
	global_store_dword v[0:1], v2, off
	s_or_b64 exec, exec, s[12:13]
	s_and_saveexec_b64 s[12:13], s[84:85]
	s_cbranch_execz .LBB0_175
.LBB0_207:                              ;   in Loop: Header=BB0_85 Depth=1
	.loc	1 45 18 is_stmt 1               ; log_softmax_aot.py:45:18
	s_waitcnt vmcnt(0)
	v_sub_f32_e32 v0, v140, v70
	.loc	1 45 31 is_stmt 0               ; log_softmax_aot.py:45:31
	v_sub_f32_e32 v2, v0, v79
	.loc	1 46 30 is_stmt 1               ; log_softmax_aot.py:46:30
	v_lshl_add_u64 v[0:1], v[52:53], 2, s[2:3]
	.loc	1 46 38 is_stmt 0               ; log_softmax_aot.py:46:38
	global_store_dword v[0:1], v2, off
	s_or_b64 exec, exec, s[12:13]
	s_and_saveexec_b64 s[12:13], s[86:87]
	s_cbranch_execz .LBB0_176
.LBB0_208:                              ;   in Loop: Header=BB0_85 Depth=1
	.loc	1 45 18 is_stmt 1               ; log_softmax_aot.py:45:18
	s_waitcnt vmcnt(0)
	v_sub_f32_e32 v0, v139, v70
	.loc	1 45 31 is_stmt 0               ; log_softmax_aot.py:45:31
	v_sub_f32_e32 v2, v0, v79
	.loc	1 46 30 is_stmt 1               ; log_softmax_aot.py:46:30
	v_lshl_add_u64 v[0:1], v[54:55], 2, s[2:3]
	.loc	1 46 38 is_stmt 0               ; log_softmax_aot.py:46:38
	global_store_dword v[0:1], v2, off
	s_or_b64 exec, exec, s[12:13]
	s_and_saveexec_b64 s[12:13], s[88:89]
	s_cbranch_execz .LBB0_177
.LBB0_209:                              ;   in Loop: Header=BB0_85 Depth=1
	.loc	1 45 18 is_stmt 1               ; log_softmax_aot.py:45:18
	s_waitcnt vmcnt(0)
	v_sub_f32_e32 v0, v142, v71
	.loc	1 45 31 is_stmt 0               ; log_softmax_aot.py:45:31
	v_sub_f32_e32 v2, v0, v80
	.loc	1 46 30 is_stmt 1               ; log_softmax_aot.py:46:30
	v_lshl_add_u64 v[0:1], v[56:57], 2, s[2:3]
	.loc	1 46 38 is_stmt 0               ; log_softmax_aot.py:46:38
	global_store_dword v[0:1], v2, off
	s_or_b64 exec, exec, s[12:13]
	s_and_saveexec_b64 s[12:13], s[0:1]
	s_cbranch_execz .LBB0_178
.LBB0_210:                              ;   in Loop: Header=BB0_85 Depth=1
	.loc	1 45 18 is_stmt 1               ; log_softmax_aot.py:45:18
	s_waitcnt vmcnt(0)
	v_sub_f32_e32 v0, v141, v71
	.loc	1 45 31 is_stmt 0               ; log_softmax_aot.py:45:31
	v_sub_f32_e32 v2, v0, v80
	.loc	1 46 30 is_stmt 1               ; log_softmax_aot.py:46:30
	v_lshl_add_u64 v[0:1], v[58:59], 2, s[2:3]
	.loc	1 46 38 is_stmt 0               ; log_softmax_aot.py:46:38
	global_store_dword v[0:1], v2, off
	s_or_b64 exec, exec, s[12:13]
	s_and_saveexec_b64 s[0:1], s[10:11]
	s_cbranch_execz .LBB0_179
.LBB0_211:                              ;   in Loop: Header=BB0_85 Depth=1
	.loc	1 45 18 is_stmt 1               ; log_softmax_aot.py:45:18
	s_waitcnt vmcnt(0)
	v_sub_f32_e32 v0, v144, v71
	.loc	1 45 31 is_stmt 0               ; log_softmax_aot.py:45:31
	v_sub_f32_e32 v2, v0, v80
	.loc	1 46 30 is_stmt 1               ; log_softmax_aot.py:46:30
	v_lshl_add_u64 v[0:1], v[60:61], 2, s[2:3]
	.loc	1 46 38 is_stmt 0               ; log_softmax_aot.py:46:38
	global_store_dword v[0:1], v2, off
	s_or_b64 exec, exec, s[0:1]
	s_and_saveexec_b64 s[0:1], s[8:9]
	s_cbranch_execz .LBB0_84
.LBB0_212:                              ;   in Loop: Header=BB0_85 Depth=1
	.loc	1 45 18 is_stmt 1               ; log_softmax_aot.py:45:18
	s_waitcnt vmcnt(0)
	v_sub_f32_e32 v0, v143, v71
	.loc	1 45 31 is_stmt 0               ; log_softmax_aot.py:45:31
	v_sub_f32_e32 v2, v0, v80
	.loc	1 46 30 is_stmt 1               ; log_softmax_aot.py:46:30
	v_lshl_add_u64 v[0:1], v[62:63], 2, s[2:3]
	.loc	1 46 38 is_stmt 0               ; log_softmax_aot.py:46:38
	global_store_dword v[0:1], v2, off
	s_branch .LBB0_84
.LBB0_213:                              ; %._crit_edge33
	.loc	1 39 4 is_stmt 1                ; log_softmax_aot.py:39:4
	s_endpgm
.LBB0_214:
.Ltmp189:
	.loc	2 191 40                        ; standard.py:191:40 @[ log_softmax_aot.py:35:26 ]
	v_mov_b32_e32 v34, s6
	v_mov_b32_e32 v35, s10
	;; [unrolled: 1-line block ×3, first 2 shown]
	ds_write2_b32 v34, v35, v36 offset1:4
	s_or_b64 exec, exec, s[0:1]
	s_and_saveexec_b64 s[0:1], vcc
	s_cbranch_execz .LBB0_69
.LBB0_215:
	v_mov_b32_e32 v34, s6
	v_mov_b32_e32 v35, s12
	;; [unrolled: 1-line block ×3, first 2 shown]
	ds_write2_b32 v34, v35, v36 offset0:8 offset1:12
	s_or_b64 exec, exec, s[0:1]
	s_and_saveexec_b64 s[0:1], vcc
	s_cbranch_execz .LBB0_70
.LBB0_216:
	v_mov_b32_e32 v34, s6
	v_mov_b32_e32 v35, s36
	;; [unrolled: 1-line block ×3, first 2 shown]
	ds_write2_b32 v34, v35, v36 offset0:16 offset1:20
	s_or_b64 exec, exec, s[0:1]
	s_and_saveexec_b64 s[0:1], vcc
	s_cbranch_execnz .LBB0_71
	s_branch .LBB0_72
.Ltmp190:
	.section	.rodata,"a",@progbits
	.p2align	6, 0x0
	.amdhsa_kernel log_softmax_kernel
		.amdhsa_group_segment_fixed_size 0
		.amdhsa_private_segment_fixed_size 0
		.amdhsa_kernarg_size 48
		.amdhsa_user_sgpr_count 14
		.amdhsa_user_sgpr_dispatch_ptr 0
		.amdhsa_user_sgpr_queue_ptr 0
		.amdhsa_user_sgpr_kernarg_segment_ptr 1
		.amdhsa_user_sgpr_dispatch_id 0
		.amdhsa_user_sgpr_kernarg_preload_length 12
		.amdhsa_user_sgpr_kernarg_preload_offset 0
		.amdhsa_user_sgpr_private_segment_size 0
		.amdhsa_uses_dynamic_stack 0
		.amdhsa_enable_private_segment 0
		.amdhsa_system_sgpr_workgroup_id_x 1
		.amdhsa_system_sgpr_workgroup_id_y 1
		.amdhsa_system_sgpr_workgroup_id_z 0
		.amdhsa_system_sgpr_workgroup_info 0
		.amdhsa_system_vgpr_workitem_id 0
		.amdhsa_next_free_vgpr 177
		.amdhsa_next_free_sgpr 93
		.amdhsa_accum_offset 180
		.amdhsa_reserve_vcc 1
		.amdhsa_reserve_xnack_mask 1
		.amdhsa_float_round_mode_32 0
		.amdhsa_float_round_mode_16_64 0
		.amdhsa_float_denorm_mode_32 3
		.amdhsa_float_denorm_mode_16_64 3
		.amdhsa_dx10_clamp 1
		.amdhsa_ieee_mode 1
		.amdhsa_fp16_overflow 0
		.amdhsa_tg_split 0
		.amdhsa_exception_fp_ieee_invalid_op 0
		.amdhsa_exception_fp_denorm_src 0
		.amdhsa_exception_fp_ieee_div_zero 0
		.amdhsa_exception_fp_ieee_overflow 0
		.amdhsa_exception_fp_ieee_underflow 0
		.amdhsa_exception_fp_ieee_inexact 0
		.amdhsa_exception_int_div_zero 0
	.end_amdhsa_kernel
	.text
.Lfunc_end0:
	.size	log_softmax_kernel, .Lfunc_end0-log_softmax_kernel
	.cfi_endproc
                                        ; -- End function
	.set log_softmax_kernel.num_vgpr, 177
	.set log_softmax_kernel.num_agpr, 0
	.set log_softmax_kernel.numbered_sgpr, 93
	.set log_softmax_kernel.num_named_barrier, 0
	.set log_softmax_kernel.private_seg_size, 0
	.set log_softmax_kernel.uses_vcc, 1
	.set log_softmax_kernel.uses_flat_scratch, 0
	.set log_softmax_kernel.has_dyn_sized_stack, 0
	.set log_softmax_kernel.has_recursion, 0
	.set log_softmax_kernel.has_indirect_call, 0
	.section	.AMDGPU.csdata,"",@progbits
; Kernel info:
; codeLenInByte = 16652
; TotalNumSgprs: 99
; NumVgprs: 177
; NumAgprs: 0
; TotalNumVgprs: 177
; ScratchSize: 0
; MemoryBound: 0
; FloatMode: 240
; IeeeMode: 1
; LDSByteSize: 0 bytes/workgroup (compile time only)
; SGPRBlocks: 12
; VGPRBlocks: 22
; NumSGPRsForWavesPerEU: 99
; NumVGPRsForWavesPerEU: 177
; AccumOffset: 180
; Occupancy: 2
; WaveLimiterHint : 0
; COMPUTE_PGM_RSRC2:SCRATCH_EN: 0
; COMPUTE_PGM_RSRC2:USER_SGPR: 14
; COMPUTE_PGM_RSRC2:TRAP_HANDLER: 0
; COMPUTE_PGM_RSRC2:TGID_X_EN: 1
; COMPUTE_PGM_RSRC2:TGID_Y_EN: 1
; COMPUTE_PGM_RSRC2:TGID_Z_EN: 0
; COMPUTE_PGM_RSRC2:TIDIG_COMP_CNT: 0
; COMPUTE_PGM_RSRC3_GFX90A:ACCUM_OFFSET: 44
; COMPUTE_PGM_RSRC3_GFX90A:TG_SPLIT: 0
	.text
	.p2alignl 6, 3212836864
	.fill 256, 4, 3212836864
	.section	.AMDGPU.gpr_maximums,"",@progbits
	.set amdgpu.max_num_vgpr, 0
	.set amdgpu.max_num_agpr, 0
	.set amdgpu.max_num_sgpr, 0
	.set amdgpu.max_num_named_barrier, 0
	.text
	.section	.debug_abbrev,"",@progbits
	.byte	1                               ; Abbreviation Code
	.byte	17                              ; DW_TAG_compile_unit
	.byte	1                               ; DW_CHILDREN_yes
	.byte	37                              ; DW_AT_producer
	.byte	14                              ; DW_FORM_strp
	.byte	19                              ; DW_AT_language
	.byte	5                               ; DW_FORM_data2
	.byte	3                               ; DW_AT_name
	.byte	14                              ; DW_FORM_strp
	.byte	16                              ; DW_AT_stmt_list
	.byte	23                              ; DW_FORM_sec_offset
	.byte	27                              ; DW_AT_comp_dir
	.byte	14                              ; DW_FORM_strp
	.byte	17                              ; DW_AT_low_pc
	.byte	1                               ; DW_FORM_addr
	.byte	18                              ; DW_AT_high_pc
	.byte	6                               ; DW_FORM_data4
	.byte	0                               ; EOM(1)
	.byte	0                               ; EOM(2)
	.byte	2                               ; Abbreviation Code
	.byte	46                              ; DW_TAG_subprogram
	.byte	0                               ; DW_CHILDREN_no
	.byte	3                               ; DW_AT_name
	.byte	14                              ; DW_FORM_strp
	.byte	32                              ; DW_AT_inline
	.byte	11                              ; DW_FORM_data1
	.byte	0                               ; EOM(1)
	.byte	0                               ; EOM(2)
	.byte	3                               ; Abbreviation Code
	.byte	46                              ; DW_TAG_subprogram
	.byte	1                               ; DW_CHILDREN_yes
	.byte	17                              ; DW_AT_low_pc
	.byte	1                               ; DW_FORM_addr
	.byte	18                              ; DW_AT_high_pc
	.byte	6                               ; DW_FORM_data4
	.byte	49                              ; DW_AT_abstract_origin
	.byte	19                              ; DW_FORM_ref4
	.byte	0                               ; EOM(1)
	.byte	0                               ; EOM(2)
	.byte	4                               ; Abbreviation Code
	.byte	29                              ; DW_TAG_inlined_subroutine
	.byte	1                               ; DW_CHILDREN_yes
	.byte	49                              ; DW_AT_abstract_origin
	.byte	19                              ; DW_FORM_ref4
	.byte	85                              ; DW_AT_ranges
	.byte	23                              ; DW_FORM_sec_offset
	.byte	88                              ; DW_AT_call_file
	.byte	11                              ; DW_FORM_data1
	.byte	89                              ; DW_AT_call_line
	.byte	11                              ; DW_FORM_data1
	.byte	87                              ; DW_AT_call_column
	.byte	11                              ; DW_FORM_data1
	.byte	0                               ; EOM(1)
	.byte	0                               ; EOM(2)
	.byte	5                               ; Abbreviation Code
	.byte	29                              ; DW_TAG_inlined_subroutine
	.byte	0                               ; DW_CHILDREN_no
	.byte	49                              ; DW_AT_abstract_origin
	.byte	19                              ; DW_FORM_ref4
	.byte	85                              ; DW_AT_ranges
	.byte	23                              ; DW_FORM_sec_offset
	.byte	88                              ; DW_AT_call_file
	.byte	11                              ; DW_FORM_data1
	.byte	89                              ; DW_AT_call_line
	.byte	5                               ; DW_FORM_data2
	.byte	87                              ; DW_AT_call_column
	.byte	11                              ; DW_FORM_data1
	.byte	0                               ; EOM(1)
	.byte	0                               ; EOM(2)
	.byte	6                               ; Abbreviation Code
	.byte	29                              ; DW_TAG_inlined_subroutine
	.byte	0                               ; DW_CHILDREN_no
	.byte	49                              ; DW_AT_abstract_origin
	.byte	19                              ; DW_FORM_ref4
	.byte	85                              ; DW_AT_ranges
	.byte	23                              ; DW_FORM_sec_offset
	.byte	88                              ; DW_AT_call_file
	.byte	11                              ; DW_FORM_data1
	.byte	89                              ; DW_AT_call_line
	.byte	11                              ; DW_FORM_data1
	.byte	87                              ; DW_AT_call_column
	.byte	11                              ; DW_FORM_data1
	.byte	0                               ; EOM(1)
	.byte	0                               ; EOM(2)
	;; [unrolled: 1-line block ×3, first 2 shown]
	.section	.debug_info,"",@progbits
.Lcu_begin0:
	.long	.Ldebug_info_end0-.Ldebug_info_start0 ; Length of Unit
.Ldebug_info_start0:
	.short	4                               ; DWARF version number
	.long	.debug_abbrev                   ; Offset Into Abbrev. Section
	.byte	8                               ; Address Size (in bytes)
	.byte	1                               ; Abbrev [1] 0xb:0x6b DW_TAG_compile_unit
	.long	.Linfo_string0                  ; DW_AT_producer
	.short	2                               ; DW_AT_language
	.long	.Linfo_string1                  ; DW_AT_name
	.long	.Lline_table_start0             ; DW_AT_stmt_list
	.long	.Linfo_string2                  ; DW_AT_comp_dir
	.quad	.Lfunc_begin0                   ; DW_AT_low_pc
	.long	.Lfunc_end0-.Lfunc_begin0       ; DW_AT_high_pc
	.byte	2                               ; Abbrev [2] 0x2a:0x6 DW_TAG_subprogram
	.long	.Linfo_string3                  ; DW_AT_name
	.byte	1                               ; DW_AT_inline
	.byte	3                               ; Abbrev [3] 0x30:0x45 DW_TAG_subprogram
	.quad	.Lfunc_begin0                   ; DW_AT_low_pc
	.long	.Lfunc_end0-.Lfunc_begin0       ; DW_AT_high_pc
	.long	42                              ; DW_AT_abstract_origin
	.byte	4                               ; Abbrev [4] 0x41:0x1a DW_TAG_inlined_subroutine
	.long	42                              ; DW_AT_abstract_origin
	.long	.Ldebug_ranges0                 ; DW_AT_ranges
	.byte	1                               ; DW_AT_call_file
	.byte	36                              ; DW_AT_call_line
	.byte	51                              ; DW_AT_call_column
	.byte	5                               ; Abbrev [5] 0x4d:0xd DW_TAG_inlined_subroutine
	.long	42                              ; DW_AT_abstract_origin
	.long	.Ldebug_ranges1                 ; DW_AT_ranges
	.byte	2                               ; DW_AT_call_file
	.short	293                             ; DW_AT_call_line
	.byte	36                              ; DW_AT_call_column
	.byte	0                               ; End Of Children Mark
	.byte	4                               ; Abbrev [4] 0x5b:0x19 DW_TAG_inlined_subroutine
	.long	42                              ; DW_AT_abstract_origin
	.long	.Ldebug_ranges2                 ; DW_AT_ranges
	.byte	1                               ; DW_AT_call_file
	.byte	35                              ; DW_AT_call_line
	.byte	26                              ; DW_AT_call_column
	.byte	6                               ; Abbrev [6] 0x67:0xc DW_TAG_inlined_subroutine
	.long	42                              ; DW_AT_abstract_origin
	.long	.Ldebug_ranges3                 ; DW_AT_ranges
	.byte	2                               ; DW_AT_call_file
	.byte	191                             ; DW_AT_call_line
	.byte	40                              ; DW_AT_call_column
	.byte	0                               ; End Of Children Mark
	.byte	0                               ; End Of Children Mark
	;; [unrolled: 1-line block ×3, first 2 shown]
.Ldebug_info_end0:
	.section	.debug_ranges,"",@progbits
.Ldebug_ranges0:
	.quad	.Ltmp1-.Lfunc_begin0
	.quad	.Ltmp2-.Lfunc_begin0
	;; [unrolled: 1-line block ×46, first 2 shown]
	.quad	0
	.quad	0
.Ldebug_ranges1:
	.quad	.Ltmp108-.Lfunc_begin0
	.quad	.Ltmp109-.Lfunc_begin0
	;; [unrolled: 1-line block ×70, first 2 shown]
	.quad	0
	.quad	0
.Ldebug_ranges2:
	.quad	.Ltmp3-.Lfunc_begin0
	.quad	.Ltmp101-.Lfunc_begin0
	;; [unrolled: 1-line block ×6, first 2 shown]
	.quad	0
	.quad	0
.Ldebug_ranges3:
	.quad	.Ltmp3-.Lfunc_begin0
	.quad	.Ltmp4-.Lfunc_begin0
	;; [unrolled: 1-line block ×102, first 2 shown]
	.quad	0
	.quad	0
	.section	.debug_str,"MS",@progbits,1
.Linfo_string0:
	.asciz	"triton"                        ; string offset=0
.Linfo_string1:
	.asciz	"log_softmax_aot.py"            ; string offset=7
.Linfo_string2:
	.asciz	"/root/src/amdgpu-assembly/repos/FlagOpen__FlagGems/triton_aot_kernels" ; string offset=26
.Linfo_string3:
	.asciz	"log_softmax_kernel"            ; string offset=96
	.section	".note.GNU-stack","",@progbits
	.amdgpu_metadata
---
amdhsa.kernels:
  - .agpr_count:     0
    .args:
      - .address_space:  global
        .offset:         0
        .size:           8
        .value_kind:     global_buffer
      - .address_space:  global
        .offset:         8
        .size:           8
        .value_kind:     global_buffer
      - .offset:         16
        .size:           4
        .value_kind:     by_value
      - .offset:         20
        .size:           4
        .value_kind:     by_value
      - .offset:         24
        .size:           4
        .value_kind:     by_value
      - .address_space:  global
        .offset:         32
        .size:           8
        .value_kind:     global_buffer
      - .address_space:  global
        .offset:         40
        .size:           8
        .value_kind:     global_buffer
    .group_segment_fixed_size: 0
    .kernarg_segment_align: 8
    .kernarg_segment_size: 48
    .max_flat_workgroup_size: 256
    .name:           log_softmax_kernel
    .private_segment_fixed_size: 0
    .sgpr_count:     99
    .sgpr_spill_count: 0
    .symbol:         log_softmax_kernel.kd
    .uniform_work_group_size: 1
    .uses_dynamic_stack: false
    .vgpr_count:     177
    .vgpr_spill_count: 0
    .wavefront_size: 64
amdhsa.target:   amdgcn-amd-amdhsa--gfx950
amdhsa.version:
  - 1
  - 2
...

	.end_amdgpu_metadata
	.section	.debug_line,"",@progbits
.Lline_table_start0:
